;; amdgpu-corpus repo=ROCm/rocFFT kind=compiled arch=gfx906 opt=O3
	.text
	.amdgcn_target "amdgcn-amd-amdhsa--gfx906"
	.amdhsa_code_object_version 6
	.protected	fft_rtc_back_len1701_factors_3_3_3_3_3_7_wgs_63_tpt_63_halfLds_half_ip_CI_unitstride_sbrr_dirReg ; -- Begin function fft_rtc_back_len1701_factors_3_3_3_3_3_7_wgs_63_tpt_63_halfLds_half_ip_CI_unitstride_sbrr_dirReg
	.globl	fft_rtc_back_len1701_factors_3_3_3_3_3_7_wgs_63_tpt_63_halfLds_half_ip_CI_unitstride_sbrr_dirReg
	.p2align	8
	.type	fft_rtc_back_len1701_factors_3_3_3_3_3_7_wgs_63_tpt_63_halfLds_half_ip_CI_unitstride_sbrr_dirReg,@function
fft_rtc_back_len1701_factors_3_3_3_3_3_7_wgs_63_tpt_63_halfLds_half_ip_CI_unitstride_sbrr_dirReg: ; @fft_rtc_back_len1701_factors_3_3_3_3_3_7_wgs_63_tpt_63_halfLds_half_ip_CI_unitstride_sbrr_dirReg
; %bb.0:
	s_load_dwordx2 s[2:3], s[4:5], 0x50
	s_load_dwordx4 s[8:11], s[4:5], 0x0
	s_load_dwordx2 s[12:13], s[4:5], 0x18
	v_mul_u32_u24_e32 v1, 0x411, v0
	v_add_u32_sdwa v5, s6, v1 dst_sel:DWORD dst_unused:UNUSED_PAD src0_sel:DWORD src1_sel:WORD_1
	v_mov_b32_e32 v3, 0
	s_waitcnt lgkmcnt(0)
	v_cmp_lt_u64_e64 s[0:1], s[10:11], 2
	v_mov_b32_e32 v1, 0
	v_mov_b32_e32 v6, v3
	s_and_b64 vcc, exec, s[0:1]
	v_mov_b32_e32 v2, 0
	s_cbranch_vccnz .LBB0_8
; %bb.1:
	s_load_dwordx2 s[0:1], s[4:5], 0x10
	s_add_u32 s6, s12, 8
	s_addc_u32 s7, s13, 0
	v_mov_b32_e32 v1, 0
	v_mov_b32_e32 v2, 0
	s_waitcnt lgkmcnt(0)
	s_add_u32 s14, s0, 8
	s_addc_u32 s15, s1, 0
	s_mov_b64 s[16:17], 1
.LBB0_2:                                ; =>This Inner Loop Header: Depth=1
	s_load_dwordx2 s[18:19], s[14:15], 0x0
                                        ; implicit-def: $vgpr7_vgpr8
	s_waitcnt lgkmcnt(0)
	v_or_b32_e32 v4, s19, v6
	v_cmp_ne_u64_e32 vcc, 0, v[3:4]
	s_and_saveexec_b64 s[0:1], vcc
	s_xor_b64 s[20:21], exec, s[0:1]
	s_cbranch_execz .LBB0_4
; %bb.3:                                ;   in Loop: Header=BB0_2 Depth=1
	v_cvt_f32_u32_e32 v4, s18
	v_cvt_f32_u32_e32 v7, s19
	s_sub_u32 s0, 0, s18
	s_subb_u32 s1, 0, s19
	v_mac_f32_e32 v4, 0x4f800000, v7
	v_rcp_f32_e32 v4, v4
	v_mul_f32_e32 v4, 0x5f7ffffc, v4
	v_mul_f32_e32 v7, 0x2f800000, v4
	v_trunc_f32_e32 v7, v7
	v_mac_f32_e32 v4, 0xcf800000, v7
	v_cvt_u32_f32_e32 v7, v7
	v_cvt_u32_f32_e32 v4, v4
	v_mul_lo_u32 v8, s0, v7
	v_mul_hi_u32 v9, s0, v4
	v_mul_lo_u32 v11, s1, v4
	v_mul_lo_u32 v10, s0, v4
	v_add_u32_e32 v8, v9, v8
	v_add_u32_e32 v8, v8, v11
	v_mul_hi_u32 v9, v4, v10
	v_mul_lo_u32 v11, v4, v8
	v_mul_hi_u32 v13, v4, v8
	v_mul_hi_u32 v12, v7, v10
	v_mul_lo_u32 v10, v7, v10
	v_mul_hi_u32 v14, v7, v8
	v_add_co_u32_e32 v9, vcc, v9, v11
	v_addc_co_u32_e32 v11, vcc, 0, v13, vcc
	v_mul_lo_u32 v8, v7, v8
	v_add_co_u32_e32 v9, vcc, v9, v10
	v_addc_co_u32_e32 v9, vcc, v11, v12, vcc
	v_addc_co_u32_e32 v10, vcc, 0, v14, vcc
	v_add_co_u32_e32 v8, vcc, v9, v8
	v_addc_co_u32_e32 v9, vcc, 0, v10, vcc
	v_add_co_u32_e32 v4, vcc, v4, v8
	v_addc_co_u32_e32 v7, vcc, v7, v9, vcc
	v_mul_lo_u32 v8, s0, v7
	v_mul_hi_u32 v9, s0, v4
	v_mul_lo_u32 v10, s1, v4
	v_mul_lo_u32 v11, s0, v4
	v_add_u32_e32 v8, v9, v8
	v_add_u32_e32 v8, v8, v10
	v_mul_lo_u32 v12, v4, v8
	v_mul_hi_u32 v13, v4, v11
	v_mul_hi_u32 v14, v4, v8
	;; [unrolled: 1-line block ×3, first 2 shown]
	v_mul_lo_u32 v11, v7, v11
	v_mul_hi_u32 v9, v7, v8
	v_add_co_u32_e32 v12, vcc, v13, v12
	v_addc_co_u32_e32 v13, vcc, 0, v14, vcc
	v_mul_lo_u32 v8, v7, v8
	v_add_co_u32_e32 v11, vcc, v12, v11
	v_addc_co_u32_e32 v10, vcc, v13, v10, vcc
	v_addc_co_u32_e32 v9, vcc, 0, v9, vcc
	v_add_co_u32_e32 v8, vcc, v10, v8
	v_addc_co_u32_e32 v9, vcc, 0, v9, vcc
	v_add_co_u32_e32 v4, vcc, v4, v8
	v_addc_co_u32_e32 v9, vcc, v7, v9, vcc
	v_mad_u64_u32 v[7:8], s[0:1], v5, v9, 0
	v_mul_hi_u32 v10, v5, v4
	v_add_co_u32_e32 v11, vcc, v10, v7
	v_addc_co_u32_e32 v12, vcc, 0, v8, vcc
	v_mad_u64_u32 v[7:8], s[0:1], v6, v4, 0
	v_mad_u64_u32 v[9:10], s[0:1], v6, v9, 0
	v_add_co_u32_e32 v4, vcc, v11, v7
	v_addc_co_u32_e32 v4, vcc, v12, v8, vcc
	v_addc_co_u32_e32 v7, vcc, 0, v10, vcc
	v_add_co_u32_e32 v4, vcc, v4, v9
	v_addc_co_u32_e32 v9, vcc, 0, v7, vcc
	v_mul_lo_u32 v10, s19, v4
	v_mul_lo_u32 v11, s18, v9
	v_mad_u64_u32 v[7:8], s[0:1], s18, v4, 0
	v_add3_u32 v8, v8, v11, v10
	v_sub_u32_e32 v10, v6, v8
	v_mov_b32_e32 v11, s19
	v_sub_co_u32_e32 v7, vcc, v5, v7
	v_subb_co_u32_e64 v10, s[0:1], v10, v11, vcc
	v_subrev_co_u32_e64 v11, s[0:1], s18, v7
	v_subbrev_co_u32_e64 v10, s[0:1], 0, v10, s[0:1]
	v_cmp_le_u32_e64 s[0:1], s19, v10
	v_cndmask_b32_e64 v12, 0, -1, s[0:1]
	v_cmp_le_u32_e64 s[0:1], s18, v11
	v_cndmask_b32_e64 v11, 0, -1, s[0:1]
	v_cmp_eq_u32_e64 s[0:1], s19, v10
	v_cndmask_b32_e64 v10, v12, v11, s[0:1]
	v_add_co_u32_e64 v11, s[0:1], 2, v4
	v_addc_co_u32_e64 v12, s[0:1], 0, v9, s[0:1]
	v_add_co_u32_e64 v13, s[0:1], 1, v4
	v_addc_co_u32_e64 v14, s[0:1], 0, v9, s[0:1]
	v_subb_co_u32_e32 v8, vcc, v6, v8, vcc
	v_cmp_ne_u32_e64 s[0:1], 0, v10
	v_cmp_le_u32_e32 vcc, s19, v8
	v_cndmask_b32_e64 v10, v14, v12, s[0:1]
	v_cndmask_b32_e64 v12, 0, -1, vcc
	v_cmp_le_u32_e32 vcc, s18, v7
	v_cndmask_b32_e64 v7, 0, -1, vcc
	v_cmp_eq_u32_e32 vcc, s19, v8
	v_cndmask_b32_e32 v7, v12, v7, vcc
	v_cmp_ne_u32_e32 vcc, 0, v7
	v_cndmask_b32_e64 v7, v13, v11, s[0:1]
	v_cndmask_b32_e32 v8, v9, v10, vcc
	v_cndmask_b32_e32 v7, v4, v7, vcc
.LBB0_4:                                ;   in Loop: Header=BB0_2 Depth=1
	s_andn2_saveexec_b64 s[0:1], s[20:21]
	s_cbranch_execz .LBB0_6
; %bb.5:                                ;   in Loop: Header=BB0_2 Depth=1
	v_cvt_f32_u32_e32 v4, s18
	s_sub_i32 s20, 0, s18
	v_rcp_iflag_f32_e32 v4, v4
	v_mul_f32_e32 v4, 0x4f7ffffe, v4
	v_cvt_u32_f32_e32 v4, v4
	v_mul_lo_u32 v7, s20, v4
	v_mul_hi_u32 v7, v4, v7
	v_add_u32_e32 v4, v4, v7
	v_mul_hi_u32 v4, v5, v4
	v_mul_lo_u32 v7, v4, s18
	v_add_u32_e32 v8, 1, v4
	v_sub_u32_e32 v7, v5, v7
	v_subrev_u32_e32 v9, s18, v7
	v_cmp_le_u32_e32 vcc, s18, v7
	v_cndmask_b32_e32 v7, v7, v9, vcc
	v_cndmask_b32_e32 v4, v4, v8, vcc
	v_add_u32_e32 v8, 1, v4
	v_cmp_le_u32_e32 vcc, s18, v7
	v_cndmask_b32_e32 v7, v4, v8, vcc
	v_mov_b32_e32 v8, v3
.LBB0_6:                                ;   in Loop: Header=BB0_2 Depth=1
	s_or_b64 exec, exec, s[0:1]
	v_mul_lo_u32 v4, v8, s18
	v_mul_lo_u32 v11, v7, s19
	v_mad_u64_u32 v[9:10], s[0:1], v7, s18, 0
	s_load_dwordx2 s[0:1], s[6:7], 0x0
	s_add_u32 s16, s16, 1
	v_add3_u32 v4, v10, v11, v4
	v_sub_co_u32_e32 v5, vcc, v5, v9
	v_subb_co_u32_e32 v4, vcc, v6, v4, vcc
	s_waitcnt lgkmcnt(0)
	v_mul_lo_u32 v4, s0, v4
	v_mul_lo_u32 v6, s1, v5
	v_mad_u64_u32 v[1:2], s[0:1], s0, v5, v[1:2]
	s_addc_u32 s17, s17, 0
	s_add_u32 s6, s6, 8
	v_add3_u32 v2, v6, v2, v4
	v_mov_b32_e32 v4, s10
	v_mov_b32_e32 v5, s11
	s_addc_u32 s7, s7, 0
	v_cmp_ge_u64_e32 vcc, s[16:17], v[4:5]
	s_add_u32 s14, s14, 8
	s_addc_u32 s15, s15, 0
	s_cbranch_vccnz .LBB0_9
; %bb.7:                                ;   in Loop: Header=BB0_2 Depth=1
	v_mov_b32_e32 v5, v7
	v_mov_b32_e32 v6, v8
	s_branch .LBB0_2
.LBB0_8:
	v_mov_b32_e32 v8, v6
	v_mov_b32_e32 v7, v5
.LBB0_9:
	s_lshl_b64 s[0:1], s[10:11], 3
	s_add_u32 s0, s12, s0
	s_addc_u32 s1, s13, s1
	s_load_dwordx2 s[6:7], s[0:1], 0x0
	s_load_dwordx2 s[10:11], s[4:5], 0x20
                                        ; implicit-def: $vgpr48
                                        ; implicit-def: $vgpr50
                                        ; implicit-def: $vgpr53
                                        ; implicit-def: $vgpr42
                                        ; implicit-def: $vgpr45
                                        ; implicit-def: $vgpr41
                                        ; implicit-def: $vgpr6
                                        ; implicit-def: $vgpr49
                                        ; implicit-def: $vgpr36
                                        ; implicit-def: $vgpr38
                                        ; implicit-def: $vgpr43
                                        ; implicit-def: $vgpr32
                                        ; implicit-def: $vgpr40
                                        ; implicit-def: $vgpr28
                                        ; implicit-def: $vgpr33
                                        ; implicit-def: $vgpr9
                                        ; implicit-def: $vgpr35
                                        ; implicit-def: $vgpr30
                                        ; implicit-def: $vgpr11
                                        ; implicit-def: $vgpr23
                                        ; implicit-def: $vgpr12
                                        ; implicit-def: $vgpr26
                                        ; implicit-def: $vgpr10
                                        ; implicit-def: $vgpr31
                                        ; implicit-def: $vgpr17
                                        ; implicit-def: $vgpr27
                                        ; implicit-def: $vgpr14
                                        ; implicit-def: $vgpr29
                                        ; implicit-def: $vgpr16
                                        ; implicit-def: $vgpr22
                                        ; implicit-def: $vgpr13
                                        ; implicit-def: $vgpr39
                                        ; implicit-def: $vgpr24
                                        ; implicit-def: $vgpr37
                                        ; implicit-def: $vgpr15
                                        ; implicit-def: $vgpr44
                                        ; implicit-def: $vgpr34
                                        ; implicit-def: $vgpr46
                                        ; implicit-def: $vgpr18
                                        ; implicit-def: $vgpr47
                                        ; implicit-def: $vgpr19
                                        ; implicit-def: $vgpr51
                                        ; implicit-def: $vgpr20
                                        ; implicit-def: $vgpr54
                                        ; implicit-def: $vgpr21
                                        ; implicit-def: $vgpr56
                                        ; implicit-def: $vgpr52
                                        ; implicit-def: $vgpr55
                                        ; implicit-def: $vgpr25
	s_waitcnt lgkmcnt(0)
	v_mad_u64_u32 v[1:2], s[0:1], s6, v7, v[1:2]
	v_mul_lo_u32 v3, s6, v8
	v_mul_lo_u32 v4, s7, v7
	s_mov_b32 s0, 0x4104105
	v_mul_hi_u32 v5, v0, s0
	v_cmp_gt_u64_e32 vcc, s[10:11], v[7:8]
	v_add3_u32 v2, v4, v2, v3
	v_lshlrev_b64 v[2:3], 2, v[1:2]
	v_mul_u32_u24_e32 v4, 63, v5
	v_sub_u32_e32 v0, v0, v4
                                        ; implicit-def: $vgpr4
                                        ; implicit-def: $vgpr1
                                        ; implicit-def: $vgpr5
                                        ; implicit-def: $vgpr7
                                        ; implicit-def: $vgpr8
	s_and_saveexec_b64 s[4:5], vcc
	s_cbranch_execz .LBB0_11
; %bb.10:
	v_mov_b32_e32 v1, 0
	v_mov_b32_e32 v4, s3
	v_add_co_u32_e64 v6, s[0:1], s2, v2
	v_addc_co_u32_e64 v7, s[0:1], v4, v3, s[0:1]
	v_lshlrev_b64 v[4:5], 2, v[0:1]
	v_add_co_u32_e64 v16, s[0:1], v6, v4
	v_addc_co_u32_e64 v17, s[0:1], v7, v5, s[0:1]
	s_movk_i32 s0, 0x1000
	v_add_co_u32_e64 v22, s[0:1], s0, v16
	global_load_dword v4, v[16:17], off
	global_load_dword v1, v[16:17], off offset:2268
	v_addc_co_u32_e64 v23, s[0:1], 0, v17, s[0:1]
	global_load_dword v25, v[16:17], off offset:252
	global_load_dword v5, v[16:17], off offset:2520
	;; [unrolled: 1-line block ×15, first 2 shown]
                                        ; kill: killed $vgpr16 killed $vgpr17
	global_load_dword v42, v[22:23], off offset:440
	global_load_dword v52, v[22:23], off offset:692
	;; [unrolled: 1-line block ×10, first 2 shown]
	s_waitcnt vmcnt(24)
	v_lshrrev_b32_e32 v55, 16, v25
	s_waitcnt vmcnt(23)
	v_lshrrev_b32_e32 v45, 16, v5
	;; [unrolled: 2-line block ×20, first 2 shown]
	v_lshrrev_b32_e32 v48, 16, v4
	v_lshrrev_b32_e32 v50, 16, v1
	s_waitcnt vmcnt(4)
	v_lshrrev_b32_e32 v44, 16, v34
	s_waitcnt vmcnt(3)
	;; [unrolled: 2-line block ×5, first 2 shown]
	v_lshrrev_b32_e32 v29, 16, v16
.LBB0_11:
	s_or_b64 exec, exec, s[4:5]
	v_add_f16_e32 v58, v1, v42
	v_add_f16_e32 v57, v4, v1
	v_fma_f16 v4, v58, -0.5, v4
	v_sub_f16_e32 v58, v50, v53
	s_mov_b32 s6, 0xbaee
	s_movk_i32 s7, 0x3aee
	v_fma_f16 v59, v58, s6, v4
	v_fma_f16 v4, v58, s7, v4
	v_add_f16_e32 v58, v48, v50
	v_add_f16_e32 v50, v50, v53
	;; [unrolled: 1-line block ×3, first 2 shown]
	v_fma_f16 v48, v50, -0.5, v48
	v_sub_f16_e32 v1, v1, v42
	v_add_f16_e32 v42, v5, v52
	v_fma_f16 v50, v1, s7, v48
	v_fma_f16 v48, v1, s6, v48
	v_add_f16_e32 v1, v5, v25
	v_fma_f16 v25, v42, -0.5, v25
	v_sub_f16_e32 v42, v45, v56
	v_add_f16_e32 v58, v58, v53
	v_fma_f16 v53, v42, s6, v25
	v_fma_f16 v25, v42, s7, v25
	v_add_f16_e32 v42, v45, v55
	v_add_f16_e32 v60, v56, v42
	;; [unrolled: 1-line block ×3, first 2 shown]
	v_fma_f16 v42, v42, -0.5, v55
	v_sub_f16_e32 v5, v5, v52
	v_add_f16_e32 v1, v52, v1
	v_fma_f16 v52, v5, s7, v42
	v_fma_f16 v55, v5, s6, v42
	v_add_f16_e32 v42, v6, v36
	v_add_f16_e32 v5, v6, v21
	v_fma_f16 v21, v42, -0.5, v21
	v_sub_f16_e32 v42, v41, v49
	v_fma_f16 v45, v42, s6, v21
	v_fma_f16 v21, v42, s7, v21
	v_add_f16_e32 v42, v41, v54
	v_add_f16_e32 v41, v41, v49
	v_fma_f16 v41, v41, -0.5, v54
	v_sub_f16_e32 v6, v6, v36
	v_add_f16_e32 v56, v49, v42
	v_fma_f16 v49, v6, s7, v41
	v_fma_f16 v6, v6, s6, v41
	v_add_f16_e32 v41, v32, v20
	v_add_f16_e32 v5, v36, v5
	;; [unrolled: 1-line block ×3, first 2 shown]
	v_fma_f16 v7, v41, -0.5, v7
	v_sub_f16_e32 v41, v51, v43
	v_fma_f16 v42, v41, s6, v7
	v_fma_f16 v7, v41, s7, v7
	v_add_f16_e32 v41, v38, v51
	v_add_f16_e32 v41, v43, v41
	;; [unrolled: 1-line block ×4, first 2 shown]
	v_fma_f16 v38, v43, -0.5, v38
	v_sub_f16_e32 v20, v20, v32
	v_add_f16_e32 v32, v28, v18
	v_fma_f16 v43, v20, s7, v38
	v_fma_f16 v51, v20, s6, v38
	v_add_f16_e32 v20, v18, v19
	v_fma_f16 v19, v32, -0.5, v19
	v_sub_f16_e32 v32, v46, v40
	v_fma_f16 v38, v32, s6, v19
	v_fma_f16 v19, v32, s7, v19
	v_add_f16_e32 v32, v46, v47
	v_add_f16_e32 v54, v40, v32
	;; [unrolled: 1-line block ×4, first 2 shown]
	v_fma_f16 v32, v32, -0.5, v47
	v_sub_f16_e32 v18, v18, v28
	v_add_f16_e32 v28, v8, v34
	v_fma_f16 v40, v18, s7, v32
	v_fma_f16 v61, v18, s6, v32
	v_add_f16_e32 v18, v9, v8
	v_fma_f16 v9, v28, -0.5, v9
	v_sub_f16_e32 v28, v35, v44
	v_fma_f16 v32, v28, s6, v9
	v_fma_f16 v9, v28, s7, v9
	v_add_f16_e32 v28, v33, v35
	v_add_f16_e32 v62, v28, v44
	;; [unrolled: 1-line block ×3, first 2 shown]
	v_fma_f16 v28, v28, -0.5, v33
	v_sub_f16_e32 v8, v8, v34
	v_add_f16_e32 v33, v24, v15
	v_add_f16_e32 v18, v18, v34
	v_fma_f16 v34, v8, s7, v28
	v_fma_f16 v8, v8, s6, v28
	v_add_f16_e32 v28, v11, v15
	v_fma_f16 v11, v33, -0.5, v11
	v_sub_f16_e32 v33, v37, v39
	v_fma_f16 v35, v33, s6, v11
	v_fma_f16 v11, v33, s7, v11
	v_add_f16_e32 v33, v30, v37
	v_add_f16_e32 v63, v39, v33
	;; [unrolled: 1-line block ×4, first 2 shown]
	v_fma_f16 v30, v33, -0.5, v30
	v_sub_f16_e32 v15, v15, v24
	v_add_f16_e32 v24, v10, v17
	v_fma_f16 v37, v15, s7, v30
	v_fma_f16 v64, v15, s6, v30
	v_add_f16_e32 v15, v12, v10
	v_fma_f16 v12, v24, -0.5, v12
	v_sub_f16_e32 v24, v26, v31
	v_fma_f16 v30, v24, s6, v12
	v_fma_f16 v12, v24, s7, v12
	v_add_f16_e32 v24, v23, v26
	v_add_f16_e32 v65, v24, v31
	;; [unrolled: 1-line block ×3, first 2 shown]
	v_fma_f16 v23, v24, -0.5, v23
	v_sub_f16_e32 v10, v10, v17
	v_fma_f16 v26, v10, s7, v23
	v_fma_f16 v10, v10, s6, v23
	v_add_f16_e32 v23, v14, v16
	v_add_f16_e32 v15, v15, v17
	;; [unrolled: 1-line block ×3, first 2 shown]
	v_fma_f16 v13, v23, -0.5, v13
	v_sub_f16_e32 v23, v27, v29
	v_mad_u32_u24 v66, v0, 6, 0
	v_add_f16_e32 v17, v16, v17
	v_fma_f16 v24, v23, s6, v13
	v_fma_f16 v13, v23, s7, v13
	v_add_f16_e32 v23, v27, v22
	v_add_f16_e32 v27, v27, v29
	ds_write_b16 v66, v57
	ds_write_b16 v66, v59 offset:2
	ds_write_b16 v66, v4 offset:4
	;; [unrolled: 1-line block ×26, first 2 shown]
	v_lshlrev_b32_e32 v4, 1, v0
	v_fma_f16 v22, v27, -0.5, v22
	v_sub_f16_e32 v14, v14, v16
	v_add_u32_e32 v1, 0, v4
	s_movk_i32 s0, 0xab
	v_add_f16_e32 v23, v29, v23
	v_fma_f16 v31, v14, s7, v22
	v_fma_f16 v14, v14, s6, v22
	s_waitcnt lgkmcnt(0)
	; wave barrier
	s_waitcnt lgkmcnt(0)
	ds_read_u16 v38, v1 offset:2520
	ds_read_u16 v35, v1 offset:2646
	;; [unrolled: 1-line block ×9, first 2 shown]
	ds_read_u16 v15, v1
	ds_read_u16 v22, v1 offset:126
	ds_read_u16 v21, v1 offset:252
	;; [unrolled: 1-line block ×17, first 2 shown]
	s_waitcnt lgkmcnt(0)
	; wave barrier
	s_waitcnt lgkmcnt(0)
	ds_write_b16 v66, v58
	ds_write_b16 v66, v50 offset:2
	ds_write_b16 v66, v48 offset:4
	;; [unrolled: 1-line block ×26, first 2 shown]
	v_mul_lo_u16_sdwa v6, v0, s0 dst_sel:DWORD dst_unused:UNUSED_PAD src0_sel:BYTE_0 src1_sel:DWORD
	v_lshrrev_b16_e32 v23, 9, v6
	v_mul_lo_u16_e32 v6, 3, v23
	v_sub_u16_e32 v26, v0, v6
	v_mov_b32_e32 v8, 3
	v_lshlrev_b32_sdwa v6, v8, v26 dst_sel:DWORD dst_unused:UNUSED_PAD src0_sel:DWORD src1_sel:BYTE_0
	v_add_u32_e32 v9, 63, v0
	s_waitcnt lgkmcnt(0)
	; wave barrier
	s_waitcnt lgkmcnt(0)
	global_load_dwordx2 v[48:49], v6, s[8:9]
	v_mul_lo_u16_sdwa v6, v9, s0 dst_sel:DWORD dst_unused:UNUSED_PAD src0_sel:BYTE_0 src1_sel:DWORD
	v_lshrrev_b16_e32 v31, 9, v6
	v_mul_lo_u16_e32 v6, 3, v31
	v_sub_u16_e32 v34, v9, v6
	v_lshlrev_b32_sdwa v6, v8, v34 dst_sel:DWORD dst_unused:UNUSED_PAD src0_sel:DWORD src1_sel:BYTE_0
	v_add_u32_e32 v7, 0x7e, v0
	global_load_dwordx2 v[50:51], v6, s[8:9]
	v_mul_lo_u16_sdwa v6, v7, s0 dst_sel:DWORD dst_unused:UNUSED_PAD src0_sel:BYTE_0 src1_sel:DWORD
	v_lshrrev_b16_e32 v37, 9, v6
	v_mul_lo_u16_e32 v6, 3, v37
	v_sub_u16_e32 v40, v7, v6
	v_lshlrev_b32_sdwa v6, v8, v40 dst_sel:DWORD dst_unused:UNUSED_PAD src0_sel:DWORD src1_sel:BYTE_0
	global_load_dwordx2 v[52:53], v6, s[8:9]
	v_add_u32_e32 v6, 0xbd, v0
	v_mul_lo_u16_sdwa v10, v6, s0 dst_sel:DWORD dst_unused:UNUSED_PAD src0_sel:BYTE_0 src1_sel:DWORD
	v_lshrrev_b16_e32 v41, 9, v10
	v_mul_lo_u16_e32 v10, 3, v41
	v_sub_u16_e32 v43, v6, v10
	v_lshlrev_b32_sdwa v10, v8, v43 dst_sel:DWORD dst_unused:UNUSED_PAD src0_sel:DWORD src1_sel:BYTE_0
	global_load_dwordx2 v[54:55], v10, s[8:9]
	v_add_u32_e32 v10, 0xfc, v0
	s_mov_b32 s0, 0xaaab
	v_mul_u32_u24_sdwa v11, v10, s0 dst_sel:DWORD dst_unused:UNUSED_PAD src0_sel:WORD_0 src1_sel:DWORD
	v_lshrrev_b32_e32 v66, 17, v11
	v_mul_lo_u16_e32 v11, 3, v66
	v_sub_u16_e32 v68, v10, v11
	v_lshlrev_b32_e32 v11, 3, v68
	global_load_dwordx2 v[56:57], v11, s[8:9]
	v_add_u32_e32 v11, 0x13b, v0
	v_mul_u32_u24_sdwa v12, v11, s0 dst_sel:DWORD dst_unused:UNUSED_PAD src0_sel:WORD_0 src1_sel:DWORD
	v_lshrrev_b32_e32 v69, 17, v12
	v_mul_lo_u16_e32 v12, 3, v69
	v_sub_u16_e32 v70, v11, v12
	v_lshlrev_b32_e32 v12, 3, v70
	global_load_dwordx2 v[58:59], v12, s[8:9]
	v_add_u32_e32 v12, 0x17a, v0
	v_mul_u32_u24_sdwa v13, v12, s0 dst_sel:DWORD dst_unused:UNUSED_PAD src0_sel:WORD_0 src1_sel:DWORD
	v_lshrrev_b32_e32 v71, 17, v13
	v_mul_lo_u16_e32 v13, 3, v71
	v_sub_u16_e32 v72, v12, v13
	v_lshlrev_b32_e32 v13, 3, v72
	global_load_dwordx2 v[60:61], v13, s[8:9]
	v_add_u32_e32 v14, 0x1b9, v0
	v_mul_u32_u24_sdwa v13, v14, s0 dst_sel:DWORD dst_unused:UNUSED_PAD src0_sel:WORD_0 src1_sel:DWORD
	v_lshrrev_b32_e32 v73, 17, v13
	v_mul_lo_u16_e32 v13, 3, v73
	v_sub_u16_e32 v74, v14, v13
	v_lshlrev_b32_e32 v13, 3, v74
	global_load_dwordx2 v[62:63], v13, s[8:9]
	v_add_u32_e32 v13, 0x1f8, v0
	v_mul_u32_u24_sdwa v64, v13, s0 dst_sel:DWORD dst_unused:UNUSED_PAD src0_sel:WORD_0 src1_sel:DWORD
	v_lshrrev_b32_e32 v75, 17, v64
	v_mul_lo_u16_e32 v64, 3, v75
	v_sub_u16_e32 v76, v13, v64
	v_lshlrev_b32_e32 v64, 3, v76
	global_load_dwordx2 v[64:65], v64, s[8:9]
	ds_read_u16 v77, v1 offset:1134
	ds_read_u16 v78, v1 offset:1260
	;; [unrolled: 1-line block ×8, first 2 shown]
	v_mul_u32_u24_e32 v23, 18, v23
	s_mov_b32 s0, 0xe38f
	s_waitcnt vmcnt(8) lgkmcnt(7)
	v_mul_f16_sdwa v85, v77, v48 dst_sel:DWORD dst_unused:UNUSED_PAD src0_sel:DWORD src1_sel:WORD_1
	v_fma_f16 v85, v67, v48, v85
	v_mul_f16_sdwa v67, v67, v48 dst_sel:DWORD dst_unused:UNUSED_PAD src0_sel:DWORD src1_sel:WORD_1
	v_fma_f16 v48, v77, v48, -v67
	ds_read_u16 v67, v1 offset:2268
	ds_read_u16 v77, v1 offset:2394
	ds_read_u16 v86, v1 offset:2520
	ds_read_u16 v87, v1 offset:2646
	ds_read_u16 v88, v1 offset:2772
	ds_read_u16 v89, v1 offset:2898
	ds_read_u16 v90, v1 offset:2016
	ds_read_u16 v91, v1 offset:2142
	s_waitcnt lgkmcnt(7)
	v_mul_f16_sdwa v92, v67, v49 dst_sel:DWORD dst_unused:UNUSED_PAD src0_sel:DWORD src1_sel:WORD_1
	v_fma_f16 v92, v47, v49, v92
	v_mul_f16_sdwa v47, v47, v49 dst_sel:DWORD dst_unused:UNUSED_PAD src0_sel:DWORD src1_sel:WORD_1
	v_fma_f16 v47, v67, v49, -v47
	s_waitcnt vmcnt(7)
	v_mul_f16_sdwa v49, v78, v50 dst_sel:DWORD dst_unused:UNUSED_PAD src0_sel:DWORD src1_sel:WORD_1
	v_fma_f16 v49, v45, v50, v49
	v_mul_f16_sdwa v45, v45, v50 dst_sel:DWORD dst_unused:UNUSED_PAD src0_sel:DWORD src1_sel:WORD_1
	v_fma_f16 v45, v78, v50, -v45
	s_waitcnt lgkmcnt(6)
	v_mul_f16_sdwa v50, v77, v51 dst_sel:DWORD dst_unused:UNUSED_PAD src0_sel:DWORD src1_sel:WORD_1
	v_fma_f16 v50, v46, v51, v50
	v_mul_f16_sdwa v46, v46, v51 dst_sel:DWORD dst_unused:UNUSED_PAD src0_sel:DWORD src1_sel:WORD_1
	v_fma_f16 v46, v77, v51, -v46
	s_waitcnt vmcnt(6)
	v_mul_f16_sdwa v51, v79, v52 dst_sel:DWORD dst_unused:UNUSED_PAD src0_sel:DWORD src1_sel:WORD_1
	v_fma_f16 v51, v44, v52, v51
	v_mul_f16_sdwa v44, v44, v52 dst_sel:DWORD dst_unused:UNUSED_PAD src0_sel:DWORD src1_sel:WORD_1
	v_fma_f16 v44, v79, v52, -v44
	;; [unrolled: 10-line block ×5, first 2 shown]
	s_waitcnt lgkmcnt(2)
	v_mul_f16_sdwa v30, v89, v59 dst_sel:DWORD dst_unused:UNUSED_PAD src0_sel:DWORD src1_sel:WORD_1
	v_fma_f16 v80, v24, v59, v30
	v_mul_f16_sdwa v24, v24, v59 dst_sel:DWORD dst_unused:UNUSED_PAD src0_sel:DWORD src1_sel:WORD_1
	v_fma_f16 v59, v89, v59, -v24
	s_waitcnt vmcnt(2)
	v_mul_f16_sdwa v24, v83, v60 dst_sel:DWORD dst_unused:UNUSED_PAD src0_sel:DWORD src1_sel:WORD_1
	v_fma_f16 v81, v28, v60, v24
	ds_read_u16 v24, v1 offset:3024
	v_mul_f16_sdwa v28, v28, v60 dst_sel:DWORD dst_unused:UNUSED_PAD src0_sel:DWORD src1_sel:WORD_1
	v_fma_f16 v60, v83, v60, -v28
	ds_read_u16 v28, v1 offset:3150
	ds_read_u16 v30, v1 offset:3276
	v_sub_f16_e32 v39, v58, v59
	s_waitcnt lgkmcnt(2)
	v_mul_f16_sdwa v33, v24, v61 dst_sel:DWORD dst_unused:UNUSED_PAD src0_sel:DWORD src1_sel:WORD_1
	v_fma_f16 v82, v36, v61, v33
	v_mul_f16_sdwa v33, v36, v61 dst_sel:DWORD dst_unused:UNUSED_PAD src0_sel:DWORD src1_sel:WORD_1
	v_fma_f16 v61, v24, v61, -v33
	s_waitcnt vmcnt(1)
	v_mul_f16_sdwa v24, v90, v62 dst_sel:DWORD dst_unused:UNUSED_PAD src0_sel:DWORD src1_sel:WORD_1
	v_fma_f16 v83, v29, v62, v24
	v_mul_f16_sdwa v24, v29, v62 dst_sel:DWORD dst_unused:UNUSED_PAD src0_sel:DWORD src1_sel:WORD_1
	v_fma_f16 v62, v90, v62, -v24
	s_waitcnt lgkmcnt(1)
	v_mul_f16_sdwa v24, v28, v63 dst_sel:DWORD dst_unused:UNUSED_PAD src0_sel:DWORD src1_sel:WORD_1
	v_fma_f16 v86, v32, v63, v24
	v_mul_f16_sdwa v24, v32, v63 dst_sel:DWORD dst_unused:UNUSED_PAD src0_sel:DWORD src1_sel:WORD_1
	v_fma_f16 v63, v28, v63, -v24
	s_waitcnt vmcnt(0)
	v_mul_f16_sdwa v24, v91, v64 dst_sel:DWORD dst_unused:UNUSED_PAD src0_sel:DWORD src1_sel:WORD_1
	v_fma_f16 v87, v27, v64, v24
	v_mul_f16_sdwa v24, v27, v64 dst_sel:DWORD dst_unused:UNUSED_PAD src0_sel:DWORD src1_sel:WORD_1
	v_fma_f16 v64, v91, v64, -v24
	s_waitcnt lgkmcnt(0)
	v_mul_f16_sdwa v24, v30, v65 dst_sel:DWORD dst_unused:UNUSED_PAD src0_sel:DWORD src1_sel:WORD_1
	v_fma_f16 v88, v25, v65, v24
	v_mul_f16_sdwa v24, v25, v65 dst_sel:DWORD dst_unused:UNUSED_PAD src0_sel:DWORD src1_sel:WORD_1
	v_fma_f16 v65, v30, v65, -v24
	v_add_f16_e32 v24, v85, v92
	v_fma_f16 v24, v24, -0.5, v15
	v_sub_f16_e32 v25, v48, v47
	v_fma_f16 v27, v25, s6, v24
	v_fma_f16 v24, v25, s7, v24
	ds_read_u16 v25, v1
	ds_read_u16 v89, v1 offset:126
	ds_read_u16 v90, v1 offset:252
	;; [unrolled: 1-line block ×7, first 2 shown]
	s_waitcnt lgkmcnt(7)
	v_add_f16_e32 v28, v25, v48
	v_add_f16_e32 v97, v28, v47
	;; [unrolled: 1-line block ×4, first 2 shown]
	v_fma_f16 v25, v28, -0.5, v25
	v_add_f16_e32 v28, v15, v92
	v_sub_f16_e32 v15, v85, v92
	v_fma_f16 v48, v15, s7, v25
	v_fma_f16 v85, v15, s6, v25
	v_add_f16_e32 v15, v49, v50
	v_fma_f16 v15, v15, -0.5, v22
	v_sub_f16_e32 v25, v45, v46
	v_fma_f16 v29, v25, s6, v15
	v_fma_f16 v25, v25, s7, v15
	v_add_f16_e32 v15, v51, v52
	v_fma_f16 v15, v15, -0.5, v21
	;; [unrolled: 5-line block ×5, first 2 shown]
	v_fma_f16 v47, v39, s6, v15
	v_fma_f16 v39, v39, s7, v15
	v_add_f16_e32 v15, v81, v82
	v_fma_f16 v15, v15, -0.5, v17
	v_sub_f16_e32 v92, v60, v61
	v_fma_f16 v98, v92, s6, v15
	v_fma_f16 v92, v92, s7, v15
	v_add_f16_e32 v15, v83, v86
	v_fma_f16 v15, v15, -0.5, v16
	v_sub_f16_e32 v99, v62, v63
	;; [unrolled: 5-line block ×3, first 2 shown]
	v_fma_f16 v102, v101, s6, v15
	v_fma_f16 v101, v101, s7, v15
	v_mov_b32_e32 v15, 1
	v_lshlrev_b32_sdwa v26, v15, v26 dst_sel:DWORD dst_unused:UNUSED_PAD src0_sel:DWORD src1_sel:BYTE_0
	v_add3_u32 v103, 0, v23, v26
	s_waitcnt lgkmcnt(0)
	; wave barrier
	s_waitcnt lgkmcnt(0)
	ds_write_b16 v103, v28
	ds_write_b16 v103, v27 offset:6
	ds_write_b16 v103, v24 offset:12
	v_lshlrev_b32_sdwa v23, v15, v34 dst_sel:DWORD dst_unused:UNUSED_PAD src0_sel:DWORD src1_sel:BYTE_0
	v_mul_u32_u24_e32 v24, 18, v31
	v_add_f16_e32 v22, v22, v49
	v_add3_u32 v104, 0, v24, v23
	v_add_f16_e32 v22, v22, v50
	ds_write_b16 v104, v22
	ds_write_b16 v104, v29 offset:6
	ds_write_b16 v104, v25 offset:12
	v_lshlrev_b32_sdwa v22, v15, v40 dst_sel:DWORD dst_unused:UNUSED_PAD src0_sel:DWORD src1_sel:BYTE_0
	v_mul_u32_u24_e32 v23, 18, v37
	v_add_f16_e32 v21, v21, v51
	v_add3_u32 v40, 0, v23, v22
	v_add_f16_e32 v21, v21, v52
	ds_write_b16 v40, v21
	ds_write_b16 v40, v32 offset:6
	ds_write_b16 v40, v30 offset:12
	v_lshlrev_b32_sdwa v21, v15, v43 dst_sel:DWORD dst_unused:UNUSED_PAD src0_sel:DWORD src1_sel:BYTE_0
	v_mul_u32_u24_e32 v22, 18, v41
	v_add_f16_e32 v20, v20, v67
	v_add3_u32 v41, 0, v22, v21
	v_add_f16_e32 v20, v20, v54
	ds_write_b16 v41, v20
	ds_write_b16 v41, v35 offset:6
	ds_write_b16 v41, v33 offset:12
	v_lshlrev_b32_e32 v20, 1, v68
	v_mul_u32_u24_e32 v21, 18, v66
	v_add_f16_e32 v19, v19, v77
	v_add3_u32 v66, 0, v21, v20
	v_add_f16_e32 v19, v19, v78
	ds_write_b16 v66, v19
	ds_write_b16 v66, v38 offset:6
	ds_write_b16 v66, v36 offset:12
	v_lshlrev_b32_e32 v19, 1, v70
	v_mul_u32_u24_e32 v20, 18, v69
	v_add_f16_e32 v18, v18, v79
	v_add3_u32 v68, 0, v20, v19
	v_add_f16_e32 v18, v18, v80
	;; [unrolled: 8-line block ×5, first 2 shown]
	ds_write_b16 v71, v5
	ds_write_b16 v71, v102 offset:6
	ds_write_b16 v71, v101 offset:12
	s_waitcnt lgkmcnt(0)
	; wave barrier
	s_waitcnt lgkmcnt(0)
	ds_read_u16 v34, v1 offset:2520
	ds_read_u16 v32, v1 offset:2646
	;; [unrolled: 1-line block ×9, first 2 shown]
	ds_read_u16 v23, v1
	ds_read_u16 v22, v1 offset:126
	ds_read_u16 v21, v1 offset:252
	;; [unrolled: 1-line block ×17, first 2 shown]
	s_waitcnt lgkmcnt(0)
	; wave barrier
	s_waitcnt lgkmcnt(0)
	ds_write_b16 v103, v97
	ds_write_b16 v103, v48 offset:6
	ds_write_b16 v103, v85 offset:12
	v_add_f16_e32 v48, v89, v45
	v_add_f16_e32 v45, v45, v46
	;; [unrolled: 1-line block ×3, first 2 shown]
	v_fma_f16 v45, v45, -0.5, v89
	v_sub_f16_e32 v46, v49, v50
	v_fma_f16 v49, v46, s7, v45
	v_fma_f16 v45, v46, s6, v45
	ds_write_b16 v104, v48
	ds_write_b16 v104, v49 offset:6
	ds_write_b16 v104, v45 offset:12
	v_add_f16_e32 v45, v90, v44
	v_add_f16_e32 v44, v44, v53
	;; [unrolled: 1-line block ×3, first 2 shown]
	v_fma_f16 v44, v44, -0.5, v90
	v_sub_f16_e32 v46, v51, v52
	v_fma_f16 v48, v46, s7, v44
	v_fma_f16 v44, v46, s6, v44
	ds_write_b16 v40, v45
	ds_write_b16 v40, v48 offset:6
	ds_write_b16 v40, v44 offset:12
	v_add_f16_e32 v40, v91, v42
	v_add_f16_e32 v42, v42, v55
	v_fma_f16 v42, v42, -0.5, v91
	v_sub_f16_e32 v44, v67, v54
	v_add_f16_e32 v40, v40, v55
	v_fma_f16 v45, v44, s7, v42
	v_fma_f16 v42, v44, s6, v42
	ds_write_b16 v41, v40
	ds_write_b16 v41, v45 offset:6
	ds_write_b16 v41, v42 offset:12
	v_add_f16_e32 v41, v56, v57
	v_add_f16_e32 v45, v58, v59
	v_add_f16_e32 v49, v60, v61
	v_add_f16_e32 v52, v62, v63
	v_add_f16_e32 v40, v93, v56
	v_fma_f16 v41, v41, -0.5, v93
	v_sub_f16_e32 v42, v77, v78
	v_fma_f16 v45, v45, -0.5, v94
	v_sub_f16_e32 v46, v79, v80
	;; [unrolled: 2-line block ×4, first 2 shown]
	v_add_f16_e32 v55, v64, v65
	v_add_f16_e32 v40, v40, v57
	v_fma_f16 v44, v42, s7, v41
	v_fma_f16 v41, v42, s6, v41
	v_add_f16_e32 v42, v94, v58
	v_fma_f16 v48, v46, s7, v45
	v_fma_f16 v45, v46, s6, v45
	;; [unrolled: 3-line block ×4, first 2 shown]
	v_add_f16_e32 v53, v84, v64
	v_fma_f16 v55, v55, -0.5, v84
	v_sub_f16_e32 v56, v87, v88
	v_add_f16_e32 v42, v42, v59
	v_add_f16_e32 v46, v46, v61
	;; [unrolled: 1-line block ×4, first 2 shown]
	v_fma_f16 v57, v56, s7, v55
	v_fma_f16 v55, v56, s6, v55
	ds_write_b16 v66, v40
	ds_write_b16 v66, v44 offset:6
	ds_write_b16 v66, v41 offset:12
	ds_write_b16 v68, v42
	ds_write_b16 v68, v48 offset:6
	ds_write_b16 v68, v45 offset:12
	;; [unrolled: 3-line block ×5, first 2 shown]
	v_mov_b32_e32 v48, 57
	v_mul_lo_u16_sdwa v40, v0, v48 dst_sel:DWORD dst_unused:UNUSED_PAD src0_sel:BYTE_0 src1_sel:DWORD
	v_mul_u32_u24_sdwa v58, v10, s0 dst_sel:DWORD dst_unused:UNUSED_PAD src0_sel:WORD_0 src1_sel:DWORD
	v_mul_u32_u24_sdwa v66, v13, s0 dst_sel:DWORD dst_unused:UNUSED_PAD src0_sel:WORD_0 src1_sel:DWORD
	v_lshrrev_b16_e32 v40, 9, v40
	v_lshrrev_b32_e32 v68, 19, v58
	v_lshrrev_b32_e32 v76, 19, v66
	v_mul_lo_u16_e32 v41, 9, v40
	v_mul_lo_u16_e32 v58, 9, v68
	;; [unrolled: 1-line block ×3, first 2 shown]
	v_sub_u16_e32 v41, v0, v41
	v_sub_u16_e32 v69, v10, v58
	;; [unrolled: 1-line block ×3, first 2 shown]
	v_lshlrev_b32_sdwa v42, v8, v41 dst_sel:DWORD dst_unused:UNUSED_PAD src0_sel:DWORD src1_sel:BYTE_0
	v_lshlrev_b32_e32 v58, 3, v69
	v_lshlrev_b32_e32 v66, 3, v77
	s_waitcnt lgkmcnt(0)
	; wave barrier
	s_waitcnt lgkmcnt(0)
	global_load_dwordx2 v[50:51], v42, s[8:9] offset:24
	v_mul_u32_u24_sdwa v60, v11, s0 dst_sel:DWORD dst_unused:UNUSED_PAD src0_sel:WORD_0 src1_sel:DWORD
	global_load_dwordx2 v[58:59], v58, s[8:9] offset:24
	v_lshrrev_b32_e32 v70, 19, v60
	global_load_dwordx2 v[66:67], v66, s[8:9] offset:24
	v_mul_lo_u16_sdwa v42, v9, v48 dst_sel:DWORD dst_unused:UNUSED_PAD src0_sel:BYTE_0 src1_sel:DWORD
	v_lshrrev_b16_e32 v42, 9, v42
	v_mul_lo_u16_e32 v44, 9, v42
	v_mul_lo_u16_e32 v60, 9, v70
	v_sub_u16_e32 v44, v9, v44
	v_sub_u16_e32 v71, v11, v60
	v_lshlrev_b32_sdwa v45, v8, v44 dst_sel:DWORD dst_unused:UNUSED_PAD src0_sel:DWORD src1_sel:BYTE_0
	v_lshlrev_b32_e32 v60, 3, v71
	global_load_dwordx2 v[52:53], v45, s[8:9] offset:24
	v_mul_u32_u24_sdwa v62, v12, s0 dst_sel:DWORD dst_unused:UNUSED_PAD src0_sel:WORD_0 src1_sel:DWORD
	global_load_dwordx2 v[60:61], v60, s[8:9] offset:24
	v_mul_lo_u16_sdwa v45, v7, v48 dst_sel:DWORD dst_unused:UNUSED_PAD src0_sel:BYTE_0 src1_sel:DWORD
	v_lshrrev_b16_e32 v45, 9, v45
	v_mul_lo_u16_e32 v46, 9, v45
	v_lshrrev_b32_e32 v72, 19, v62
	v_sub_u16_e32 v46, v7, v46
	v_mul_lo_u16_e32 v62, 9, v72
	v_lshlrev_b32_sdwa v49, v8, v46 dst_sel:DWORD dst_unused:UNUSED_PAD src0_sel:DWORD src1_sel:BYTE_0
	v_mul_lo_u16_sdwa v48, v6, v48 dst_sel:DWORD dst_unused:UNUSED_PAD src0_sel:BYTE_0 src1_sel:DWORD
	v_sub_u16_e32 v73, v12, v62
	global_load_dwordx2 v[54:55], v49, s[8:9] offset:24
	v_lshrrev_b16_e32 v48, 9, v48
	v_lshlrev_b32_e32 v62, 3, v73
	global_load_dwordx2 v[62:63], v62, s[8:9] offset:24
	v_mul_lo_u16_e32 v49, 9, v48
	v_sub_u16_e32 v49, v6, v49
	v_lshlrev_b32_sdwa v56, v8, v49 dst_sel:DWORD dst_unused:UNUSED_PAD src0_sel:DWORD src1_sel:BYTE_0
	global_load_dwordx2 v[56:57], v56, s[8:9] offset:24
	v_mul_u32_u24_sdwa v64, v14, s0 dst_sel:DWORD dst_unused:UNUSED_PAD src0_sel:WORD_0 src1_sel:DWORD
	v_lshrrev_b32_e32 v74, 19, v64
	v_mul_lo_u16_e32 v64, 9, v74
	v_sub_u16_e32 v75, v14, v64
	v_lshlrev_b32_e32 v64, 3, v75
	global_load_dwordx2 v[64:65], v64, s[8:9] offset:24
	ds_read_u16 v78, v1 offset:1134
	ds_read_u16 v79, v1 offset:1260
	;; [unrolled: 1-line block ×8, first 2 shown]
	v_lshlrev_b32_sdwa v41, v15, v41 dst_sel:DWORD dst_unused:UNUSED_PAD src0_sel:DWORD src1_sel:BYTE_0
	v_mul_u32_u24_e32 v40, 54, v40
	v_add3_u32 v40, 0, v40, v41
	s_movk_i32 s0, 0x2f69
	s_waitcnt vmcnt(8) lgkmcnt(7)
	v_mul_f16_sdwa v86, v78, v50 dst_sel:DWORD dst_unused:UNUSED_PAD src0_sel:DWORD src1_sel:WORD_1
	v_fma_f16 v86, v47, v50, v86
	v_mul_f16_sdwa v47, v47, v50 dst_sel:DWORD dst_unused:UNUSED_PAD src0_sel:DWORD src1_sel:WORD_1
	v_fma_f16 v47, v78, v50, -v47
	ds_read_u16 v50, v1 offset:2268
	ds_read_u16 v78, v1 offset:2394
	;; [unrolled: 1-line block ×8, first 2 shown]
	s_waitcnt lgkmcnt(7)
	v_mul_f16_sdwa v93, v50, v51 dst_sel:DWORD dst_unused:UNUSED_PAD src0_sel:DWORD src1_sel:WORD_1
	v_fma_f16 v93, v43, v51, v93
	v_mul_f16_sdwa v43, v43, v51 dst_sel:DWORD dst_unused:UNUSED_PAD src0_sel:DWORD src1_sel:WORD_1
	v_fma_f16 v43, v50, v51, -v43
	s_waitcnt vmcnt(5)
	v_mul_f16_sdwa v50, v79, v52 dst_sel:DWORD dst_unused:UNUSED_PAD src0_sel:DWORD src1_sel:WORD_1
	v_fma_f16 v50, v38, v52, v50
	v_mul_f16_sdwa v38, v38, v52 dst_sel:DWORD dst_unused:UNUSED_PAD src0_sel:DWORD src1_sel:WORD_1
	v_fma_f16 v51, v79, v52, -v38
	s_waitcnt lgkmcnt(6)
	v_mul_f16_sdwa v38, v78, v53 dst_sel:DWORD dst_unused:UNUSED_PAD src0_sel:DWORD src1_sel:WORD_1
	v_fma_f16 v52, v39, v53, v38
	v_mul_f16_sdwa v38, v39, v53 dst_sel:DWORD dst_unused:UNUSED_PAD src0_sel:DWORD src1_sel:WORD_1
	v_fma_f16 v53, v78, v53, -v38
	s_waitcnt vmcnt(3)
	v_mul_f16_sdwa v38, v80, v54 dst_sel:DWORD dst_unused:UNUSED_PAD src0_sel:DWORD src1_sel:WORD_1
	v_fma_f16 v78, v37, v54, v38
	v_mul_f16_sdwa v37, v37, v54 dst_sel:DWORD dst_unused:UNUSED_PAD src0_sel:DWORD src1_sel:WORD_1
	v_fma_f16 v54, v80, v54, -v37
	;; [unrolled: 10-line block ×3, first 2 shown]
	s_waitcnt lgkmcnt(4)
	v_mul_f16_sdwa v34, v88, v57 dst_sel:DWORD dst_unused:UNUSED_PAD src0_sel:DWORD src1_sel:WORD_1
	v_fma_f16 v81, v32, v57, v34
	v_mul_f16_sdwa v32, v32, v57 dst_sel:DWORD dst_unused:UNUSED_PAD src0_sel:DWORD src1_sel:WORD_1
	v_fma_f16 v57, v88, v57, -v32
	v_mul_f16_sdwa v32, v82, v58 dst_sel:DWORD dst_unused:UNUSED_PAD src0_sel:DWORD src1_sel:WORD_1
	v_fma_f16 v87, v35, v58, v32
	v_mul_f16_sdwa v32, v35, v58 dst_sel:DWORD dst_unused:UNUSED_PAD src0_sel:DWORD src1_sel:WORD_1
	v_fma_f16 v58, v82, v58, -v32
	s_waitcnt lgkmcnt(3)
	v_mul_f16_sdwa v32, v89, v59 dst_sel:DWORD dst_unused:UNUSED_PAD src0_sel:DWORD src1_sel:WORD_1
	v_fma_f16 v82, v29, v59, v32
	v_mul_f16_sdwa v29, v29, v59 dst_sel:DWORD dst_unused:UNUSED_PAD src0_sel:DWORD src1_sel:WORD_1
	v_fma_f16 v59, v89, v59, -v29
	v_mul_f16_sdwa v29, v83, v60 dst_sel:DWORD dst_unused:UNUSED_PAD src0_sel:DWORD src1_sel:WORD_1
	v_fma_f16 v88, v31, v60, v29
	v_mul_f16_sdwa v29, v31, v60 dst_sel:DWORD dst_unused:UNUSED_PAD src0_sel:DWORD src1_sel:WORD_1
	v_fma_f16 v60, v83, v60, -v29
	s_waitcnt lgkmcnt(2)
	v_mul_f16_sdwa v29, v90, v61 dst_sel:DWORD dst_unused:UNUSED_PAD src0_sel:DWORD src1_sel:WORD_1
	v_fma_f16 v83, v24, v61, v29
	v_mul_f16_sdwa v24, v24, v61 dst_sel:DWORD dst_unused:UNUSED_PAD src0_sel:DWORD src1_sel:WORD_1
	v_fma_f16 v61, v90, v61, -v24
	v_mul_f16_sdwa v24, v84, v62 dst_sel:DWORD dst_unused:UNUSED_PAD src0_sel:DWORD src1_sel:WORD_1
	v_fma_f16 v89, v27, v62, v24
	ds_read_u16 v24, v1 offset:3024
	v_mul_f16_sdwa v27, v27, v62 dst_sel:DWORD dst_unused:UNUSED_PAD src0_sel:DWORD src1_sel:WORD_1
	v_fma_f16 v62, v84, v62, -v27
	ds_read_u16 v27, v1 offset:3150
	ds_read_u16 v29, v1 offset:3276
	v_sub_f16_e32 v35, v60, v61
	s_waitcnt lgkmcnt(2)
	v_mul_f16_sdwa v31, v24, v63 dst_sel:DWORD dst_unused:UNUSED_PAD src0_sel:DWORD src1_sel:WORD_1
	v_fma_f16 v84, v33, v63, v31
	v_mul_f16_sdwa v31, v33, v63 dst_sel:DWORD dst_unused:UNUSED_PAD src0_sel:DWORD src1_sel:WORD_1
	v_fma_f16 v63, v24, v63, -v31
	s_waitcnt vmcnt(0)
	v_mul_f16_sdwa v24, v91, v64 dst_sel:DWORD dst_unused:UNUSED_PAD src0_sel:DWORD src1_sel:WORD_1
	v_fma_f16 v90, v28, v64, v24
	v_mul_f16_sdwa v24, v28, v64 dst_sel:DWORD dst_unused:UNUSED_PAD src0_sel:DWORD src1_sel:WORD_1
	v_fma_f16 v64, v91, v64, -v24
	s_waitcnt lgkmcnt(1)
	v_mul_f16_sdwa v24, v27, v65 dst_sel:DWORD dst_unused:UNUSED_PAD src0_sel:DWORD src1_sel:WORD_1
	v_fma_f16 v91, v30, v65, v24
	v_mul_f16_sdwa v24, v30, v65 dst_sel:DWORD dst_unused:UNUSED_PAD src0_sel:DWORD src1_sel:WORD_1
	v_fma_f16 v65, v27, v65, -v24
	v_mul_f16_sdwa v24, v92, v66 dst_sel:DWORD dst_unused:UNUSED_PAD src0_sel:DWORD src1_sel:WORD_1
	v_fma_f16 v94, v26, v66, v24
	v_mul_f16_sdwa v24, v26, v66 dst_sel:DWORD dst_unused:UNUSED_PAD src0_sel:DWORD src1_sel:WORD_1
	v_fma_f16 v66, v92, v66, -v24
	s_waitcnt lgkmcnt(0)
	v_mul_f16_sdwa v24, v29, v67 dst_sel:DWORD dst_unused:UNUSED_PAD src0_sel:DWORD src1_sel:WORD_1
	v_fma_f16 v92, v25, v67, v24
	v_mul_f16_sdwa v24, v25, v67 dst_sel:DWORD dst_unused:UNUSED_PAD src0_sel:DWORD src1_sel:WORD_1
	v_fma_f16 v67, v29, v67, -v24
	v_add_f16_e32 v24, v86, v93
	v_fma_f16 v24, v24, -0.5, v23
	v_sub_f16_e32 v25, v47, v43
	v_fma_f16 v26, v25, s6, v24
	v_fma_f16 v24, v25, s7, v24
	ds_read_u16 v25, v1
	ds_read_u16 v95, v1 offset:126
	ds_read_u16 v96, v1 offset:252
	;; [unrolled: 1-line block ×7, first 2 shown]
	s_waitcnt lgkmcnt(7)
	v_add_f16_e32 v27, v25, v47
	v_add_f16_e32 v102, v27, v43
	;; [unrolled: 1-line block ×3, first 2 shown]
	v_fma_f16 v25, v27, -0.5, v25
	v_add_f16_e32 v23, v23, v86
	v_sub_f16_e32 v27, v86, v93
	v_add_f16_e32 v23, v23, v93
	v_fma_f16 v47, v27, s7, v25
	v_fma_f16 v86, v27, s6, v25
	v_add_f16_e32 v25, v50, v52
	v_fma_f16 v25, v25, -0.5, v22
	v_sub_f16_e32 v27, v51, v53
	s_waitcnt lgkmcnt(0)
	; wave barrier
	s_waitcnt lgkmcnt(0)
	ds_write_b16 v40, v23
	ds_write_b16 v40, v26 offset:18
	ds_write_b16 v40, v24 offset:36
	v_lshlrev_b32_sdwa v23, v15, v44 dst_sel:DWORD dst_unused:UNUSED_PAD src0_sel:DWORD src1_sel:BYTE_0
	v_mul_u32_u24_e32 v24, 54, v42
	v_add_f16_e32 v22, v22, v50
	v_fma_f16 v28, v27, s6, v25
	v_fma_f16 v25, v27, s7, v25
	v_add_f16_e32 v27, v78, v79
	v_add3_u32 v41, 0, v24, v23
	v_add_f16_e32 v22, v22, v52
	v_fma_f16 v27, v27, -0.5, v21
	v_sub_f16_e32 v29, v54, v55
	ds_write_b16 v41, v22
	ds_write_b16 v41, v28 offset:18
	ds_write_b16 v41, v25 offset:36
	v_lshlrev_b32_sdwa v22, v15, v46 dst_sel:DWORD dst_unused:UNUSED_PAD src0_sel:DWORD src1_sel:BYTE_0
	v_mul_u32_u24_e32 v23, 54, v45
	v_add_f16_e32 v21, v21, v78
	v_fma_f16 v30, v29, s6, v27
	v_fma_f16 v27, v29, s7, v27
	v_add_f16_e32 v29, v80, v81
	v_add3_u32 v42, 0, v23, v22
	v_add_f16_e32 v21, v21, v79
	v_fma_f16 v29, v29, -0.5, v20
	v_sub_f16_e32 v31, v56, v57
	;; [unrolled: 13-line block ×3, first 2 shown]
	ds_write_b16 v44, v20
	ds_write_b16 v44, v32 offset:18
	ds_write_b16 v44, v29 offset:36
	v_lshlrev_b32_e32 v20, 1, v69
	v_mul_u32_u24_e32 v21, 54, v68
	v_add_f16_e32 v19, v19, v87
	v_fma_f16 v34, v33, s6, v31
	v_fma_f16 v31, v33, s7, v31
	v_add_f16_e32 v33, v88, v83
	v_add3_u32 v45, 0, v21, v20
	v_add_f16_e32 v19, v19, v82
	v_fma_f16 v33, v33, -0.5, v18
	ds_write_b16 v45, v19
	ds_write_b16 v45, v34 offset:18
	ds_write_b16 v45, v31 offset:36
	v_lshlrev_b32_e32 v19, 1, v71
	v_mul_u32_u24_e32 v20, 54, v70
	v_add_f16_e32 v18, v18, v88
	v_fma_f16 v36, v35, s6, v33
	v_fma_f16 v33, v35, s7, v33
	v_add_f16_e32 v35, v89, v84
	v_add3_u32 v48, 0, v20, v19
	v_add_f16_e32 v18, v18, v83
	v_fma_f16 v35, v35, -0.5, v17
	v_sub_f16_e32 v37, v62, v63
	ds_write_b16 v48, v18
	ds_write_b16 v48, v36 offset:18
	ds_write_b16 v48, v33 offset:36
	v_lshlrev_b32_e32 v18, 1, v73
	v_mul_u32_u24_e32 v19, 54, v72
	v_add_f16_e32 v17, v17, v89
	v_fma_f16 v38, v37, s6, v35
	v_fma_f16 v35, v37, s7, v35
	v_add_f16_e32 v37, v90, v91
	v_add3_u32 v49, 0, v19, v18
	v_add_f16_e32 v17, v17, v84
	v_fma_f16 v37, v37, -0.5, v16
	v_sub_f16_e32 v39, v64, v65
	;; [unrolled: 13-line block ×3, first 2 shown]
	ds_write_b16 v68, v16
	ds_write_b16 v68, v43 offset:18
	ds_write_b16 v68, v37 offset:36
	v_lshlrev_b32_e32 v16, 1, v77
	v_mul_u32_u24_e32 v17, 54, v76
	v_add_f16_e32 v5, v5, v94
	v_fma_f16 v103, v93, s6, v39
	v_fma_f16 v39, v93, s7, v39
	v_add3_u32 v69, 0, v17, v16
	v_add_f16_e32 v5, v5, v92
	ds_write_b16 v69, v5
	ds_write_b16 v69, v103 offset:18
	ds_write_b16 v69, v39 offset:36
	s_waitcnt lgkmcnt(0)
	; wave barrier
	s_waitcnt lgkmcnt(0)
	ds_read_u16 v34, v1 offset:2520
	ds_read_u16 v32, v1 offset:2646
	;; [unrolled: 1-line block ×9, first 2 shown]
	ds_read_u16 v23, v1
	ds_read_u16 v22, v1 offset:126
	ds_read_u16 v21, v1 offset:252
	;; [unrolled: 1-line block ×17, first 2 shown]
	s_waitcnt lgkmcnt(0)
	; wave barrier
	s_waitcnt lgkmcnt(0)
	ds_write_b16 v40, v102
	ds_write_b16 v40, v47 offset:18
	ds_write_b16 v40, v86 offset:36
	v_add_f16_e32 v40, v95, v51
	v_add_f16_e32 v47, v51, v53
	;; [unrolled: 1-line block ×3, first 2 shown]
	v_fma_f16 v47, v47, -0.5, v95
	v_sub_f16_e32 v50, v50, v52
	v_fma_f16 v51, v50, s7, v47
	v_fma_f16 v47, v50, s6, v47
	ds_write_b16 v41, v40
	ds_write_b16 v41, v51 offset:18
	ds_write_b16 v41, v47 offset:36
	v_add_f16_e32 v41, v54, v55
	v_add_f16_e32 v40, v96, v54
	v_fma_f16 v41, v41, -0.5, v96
	v_sub_f16_e32 v47, v78, v79
	v_add_f16_e32 v40, v40, v55
	v_fma_f16 v50, v47, s7, v41
	v_fma_f16 v41, v47, s6, v41
	ds_write_b16 v42, v40
	ds_write_b16 v42, v50 offset:18
	ds_write_b16 v42, v41 offset:36
	v_add_f16_e32 v41, v56, v57
	v_add_f16_e32 v40, v97, v56
	v_fma_f16 v41, v41, -0.5, v97
	v_sub_f16_e32 v42, v80, v81
	v_add_f16_e32 v40, v40, v57
	v_fma_f16 v47, v42, s7, v41
	v_fma_f16 v41, v42, s6, v41
	ds_write_b16 v44, v40
	ds_write_b16 v44, v47 offset:18
	ds_write_b16 v44, v41 offset:36
	v_add_f16_e32 v41, v58, v59
	v_add_f16_e32 v47, v60, v61
	;; [unrolled: 1-line block ×5, first 2 shown]
	v_fma_f16 v41, v41, -0.5, v98
	v_sub_f16_e32 v42, v87, v82
	v_fma_f16 v47, v47, -0.5, v99
	v_sub_f16_e32 v50, v88, v83
	;; [unrolled: 2-line block ×4, first 2 shown]
	v_add_f16_e32 v58, v66, v67
	v_add_f16_e32 v40, v40, v59
	v_fma_f16 v44, v42, s7, v41
	v_fma_f16 v41, v42, s6, v41
	v_add_f16_e32 v42, v99, v60
	v_fma_f16 v51, v50, s7, v47
	v_fma_f16 v47, v50, s6, v47
	;; [unrolled: 3-line block ×4, first 2 shown]
	v_add_f16_e32 v56, v85, v66
	v_fma_f16 v58, v58, -0.5, v85
	v_sub_f16_e32 v59, v94, v92
	v_add_f16_e32 v42, v42, v61
	v_add_f16_e32 v50, v50, v63
	v_add_f16_e32 v53, v53, v65
	v_add_f16_e32 v56, v56, v67
	v_fma_f16 v60, v59, s7, v58
	v_fma_f16 v58, v59, s6, v58
	ds_write_b16 v45, v40
	ds_write_b16 v45, v44 offset:18
	ds_write_b16 v45, v41 offset:36
	ds_write_b16 v48, v42
	ds_write_b16 v48, v51 offset:18
	ds_write_b16 v48, v47 offset:36
	;; [unrolled: 3-line block ×5, first 2 shown]
	v_mov_b32_e32 v48, 19
	v_mul_lo_u16_sdwa v40, v0, v48 dst_sel:DWORD dst_unused:UNUSED_PAD src0_sel:BYTE_0 src1_sel:DWORD
	v_lshrrev_b16_e32 v40, 9, v40
	v_mul_lo_u16_e32 v41, 27, v40
	v_sub_u16_e32 v41, v0, v41
	v_lshlrev_b32_sdwa v42, v8, v41 dst_sel:DWORD dst_unused:UNUSED_PAD src0_sel:DWORD src1_sel:BYTE_0
	s_waitcnt lgkmcnt(0)
	; wave barrier
	s_waitcnt lgkmcnt(0)
	global_load_dwordx2 v[50:51], v42, s[8:9] offset:96
	v_mul_lo_u16_sdwa v42, v9, v48 dst_sel:DWORD dst_unused:UNUSED_PAD src0_sel:BYTE_0 src1_sel:DWORD
	v_lshrrev_b16_e32 v42, 9, v42
	v_mul_lo_u16_e32 v44, 27, v42
	v_sub_u16_e32 v44, v9, v44
	v_lshlrev_b32_sdwa v47, v8, v44 dst_sel:DWORD dst_unused:UNUSED_PAD src0_sel:DWORD src1_sel:BYTE_0
	v_mul_lo_u16_sdwa v45, v7, v48 dst_sel:DWORD dst_unused:UNUSED_PAD src0_sel:BYTE_0 src1_sel:DWORD
	v_lshrrev_b16_e32 v45, 9, v45
	global_load_dwordx2 v[52:53], v47, s[8:9] offset:96
	v_mul_lo_u16_sdwa v48, v6, v48 dst_sel:DWORD dst_unused:UNUSED_PAD src0_sel:BYTE_0 src1_sel:DWORD
	v_mul_lo_u16_e32 v49, 27, v45
	v_lshrrev_b16_e32 v48, 9, v48
	v_sub_u16_e32 v47, v7, v49
	v_mul_lo_u16_e32 v49, 27, v48
	v_lshlrev_b32_sdwa v58, v8, v47 dst_sel:DWORD dst_unused:UNUSED_PAD src0_sel:DWORD src1_sel:BYTE_0
	v_sub_u16_e32 v49, v6, v49
	v_lshlrev_b32_sdwa v59, v8, v49 dst_sel:DWORD dst_unused:UNUSED_PAD src0_sel:DWORD src1_sel:BYTE_0
	global_load_dwordx2 v[54:55], v58, s[8:9] offset:96
	global_load_dwordx2 v[56:57], v59, s[8:9] offset:96
	v_mul_u32_u24_sdwa v58, v10, s0 dst_sel:DWORD dst_unused:UNUSED_PAD src0_sel:WORD_0 src1_sel:DWORD
	v_sub_u16_sdwa v59, v10, v58 dst_sel:DWORD dst_unused:UNUSED_PAD src0_sel:DWORD src1_sel:WORD_1
	v_lshrrev_b16_e32 v59, 1, v59
	v_add_u16_sdwa v58, v59, v58 dst_sel:DWORD dst_unused:UNUSED_PAD src0_sel:DWORD src1_sel:WORD_1
	v_lshrrev_b16_e32 v68, 4, v58
	v_mul_u32_u24_sdwa v59, v11, s0 dst_sel:DWORD dst_unused:UNUSED_PAD src0_sel:WORD_0 src1_sel:DWORD
	v_mul_lo_u16_e32 v58, 27, v68
	v_sub_u16_sdwa v60, v11, v59 dst_sel:DWORD dst_unused:UNUSED_PAD src0_sel:DWORD src1_sel:WORD_1
	v_sub_u16_e32 v69, v10, v58
	v_lshrrev_b16_e32 v60, 1, v60
	v_lshlrev_b32_e32 v58, 3, v69
	v_add_u16_sdwa v59, v60, v59 dst_sel:DWORD dst_unused:UNUSED_PAD src0_sel:DWORD src1_sel:WORD_1
	v_lshrrev_b16_e32 v70, 4, v59
	global_load_dwordx2 v[58:59], v58, s[8:9] offset:96
	v_mul_u32_u24_sdwa v61, v12, s0 dst_sel:DWORD dst_unused:UNUSED_PAD src0_sel:WORD_0 src1_sel:DWORD
	v_mul_lo_u16_e32 v60, 27, v70
	v_sub_u16_sdwa v62, v12, v61 dst_sel:DWORD dst_unused:UNUSED_PAD src0_sel:DWORD src1_sel:WORD_1
	v_sub_u16_e32 v71, v11, v60
	v_lshrrev_b16_e32 v62, 1, v62
	v_lshlrev_b32_e32 v60, 3, v71
	v_add_u16_sdwa v62, v62, v61 dst_sel:DWORD dst_unused:UNUSED_PAD src0_sel:DWORD src1_sel:WORD_1
	global_load_dwordx2 v[60:61], v60, s[8:9] offset:96
	v_lshrrev_b16_e32 v72, 4, v62
	v_mul_lo_u16_e32 v62, 27, v72
	v_sub_u16_e32 v73, v12, v62
	v_mul_u32_u24_sdwa v64, v14, s0 dst_sel:DWORD dst_unused:UNUSED_PAD src0_sel:WORD_0 src1_sel:DWORD
	v_lshlrev_b32_e32 v62, 3, v73
	v_sub_u16_sdwa v63, v14, v64 dst_sel:DWORD dst_unused:UNUSED_PAD src0_sel:DWORD src1_sel:WORD_1
	v_lshrrev_b16_e32 v65, 1, v63
	global_load_dwordx2 v[62:63], v62, s[8:9] offset:96
	v_add_u16_sdwa v64, v65, v64 dst_sel:DWORD dst_unused:UNUSED_PAD src0_sel:DWORD src1_sel:WORD_1
	v_lshrrev_b16_e32 v74, 4, v64
	v_mul_u32_u24_sdwa v66, v13, s0 dst_sel:DWORD dst_unused:UNUSED_PAD src0_sel:WORD_0 src1_sel:DWORD
	v_mul_lo_u16_e32 v64, 27, v74
	v_sub_u16_sdwa v67, v13, v66 dst_sel:DWORD dst_unused:UNUSED_PAD src0_sel:DWORD src1_sel:WORD_1
	v_sub_u16_e32 v75, v14, v64
	v_lshrrev_b16_e32 v67, 1, v67
	v_lshlrev_b32_e32 v64, 3, v75
	global_load_dwordx2 v[64:65], v64, s[8:9] offset:96
	v_add_u16_sdwa v66, v67, v66 dst_sel:DWORD dst_unused:UNUSED_PAD src0_sel:DWORD src1_sel:WORD_1
	v_lshrrev_b16_e32 v76, 4, v66
	v_mul_lo_u16_e32 v66, 27, v76
	v_sub_u16_e32 v77, v13, v66
	v_lshlrev_b32_e32 v66, 3, v77
	global_load_dwordx2 v[66:67], v66, s[8:9] offset:96
	ds_read_u16 v78, v1 offset:1134
	ds_read_u16 v79, v1 offset:1260
	;; [unrolled: 1-line block ×8, first 2 shown]
	v_lshlrev_b32_sdwa v41, v15, v41 dst_sel:DWORD dst_unused:UNUSED_PAD src0_sel:DWORD src1_sel:BYTE_0
	v_mul_u32_u24_e32 v40, 0xa2, v40
	s_waitcnt vmcnt(8) lgkmcnt(7)
	v_mul_f16_sdwa v86, v78, v50 dst_sel:DWORD dst_unused:UNUSED_PAD src0_sel:DWORD src1_sel:WORD_1
	v_fma_f16 v86, v46, v50, v86
	v_mul_f16_sdwa v46, v46, v50 dst_sel:DWORD dst_unused:UNUSED_PAD src0_sel:DWORD src1_sel:WORD_1
	v_fma_f16 v46, v78, v50, -v46
	ds_read_u16 v50, v1 offset:2268
	ds_read_u16 v78, v1 offset:2394
	;; [unrolled: 1-line block ×8, first 2 shown]
	s_waitcnt lgkmcnt(7)
	v_mul_f16_sdwa v93, v50, v51 dst_sel:DWORD dst_unused:UNUSED_PAD src0_sel:DWORD src1_sel:WORD_1
	v_fma_f16 v93, v43, v51, v93
	v_mul_f16_sdwa v43, v43, v51 dst_sel:DWORD dst_unused:UNUSED_PAD src0_sel:DWORD src1_sel:WORD_1
	v_fma_f16 v43, v50, v51, -v43
	s_waitcnt vmcnt(7)
	v_mul_f16_sdwa v50, v79, v52 dst_sel:DWORD dst_unused:UNUSED_PAD src0_sel:DWORD src1_sel:WORD_1
	v_fma_f16 v50, v38, v52, v50
	v_mul_f16_sdwa v38, v38, v52 dst_sel:DWORD dst_unused:UNUSED_PAD src0_sel:DWORD src1_sel:WORD_1
	v_fma_f16 v51, v79, v52, -v38
	s_waitcnt lgkmcnt(6)
	v_mul_f16_sdwa v38, v78, v53 dst_sel:DWORD dst_unused:UNUSED_PAD src0_sel:DWORD src1_sel:WORD_1
	v_fma_f16 v52, v39, v53, v38
	v_mul_f16_sdwa v38, v39, v53 dst_sel:DWORD dst_unused:UNUSED_PAD src0_sel:DWORD src1_sel:WORD_1
	v_fma_f16 v53, v78, v53, -v38
	s_waitcnt vmcnt(6)
	v_mul_f16_sdwa v38, v80, v54 dst_sel:DWORD dst_unused:UNUSED_PAD src0_sel:DWORD src1_sel:WORD_1
	v_fma_f16 v78, v37, v54, v38
	v_mul_f16_sdwa v37, v37, v54 dst_sel:DWORD dst_unused:UNUSED_PAD src0_sel:DWORD src1_sel:WORD_1
	v_fma_f16 v54, v80, v54, -v37
	s_waitcnt lgkmcnt(5)
	v_mul_f16_sdwa v37, v87, v55 dst_sel:DWORD dst_unused:UNUSED_PAD src0_sel:DWORD src1_sel:WORD_1
	v_fma_f16 v79, v34, v55, v37
	v_mul_f16_sdwa v34, v34, v55 dst_sel:DWORD dst_unused:UNUSED_PAD src0_sel:DWORD src1_sel:WORD_1
	v_fma_f16 v55, v87, v55, -v34
	s_waitcnt vmcnt(5)
	v_mul_f16_sdwa v34, v81, v56 dst_sel:DWORD dst_unused:UNUSED_PAD src0_sel:DWORD src1_sel:WORD_1
	v_fma_f16 v80, v36, v56, v34
	v_mul_f16_sdwa v34, v36, v56 dst_sel:DWORD dst_unused:UNUSED_PAD src0_sel:DWORD src1_sel:WORD_1
	v_fma_f16 v56, v81, v56, -v34
	s_waitcnt lgkmcnt(4)
	v_mul_f16_sdwa v34, v88, v57 dst_sel:DWORD dst_unused:UNUSED_PAD src0_sel:DWORD src1_sel:WORD_1
	v_fma_f16 v81, v32, v57, v34
	v_mul_f16_sdwa v32, v32, v57 dst_sel:DWORD dst_unused:UNUSED_PAD src0_sel:DWORD src1_sel:WORD_1
	v_fma_f16 v57, v88, v57, -v32
	s_waitcnt vmcnt(4)
	v_mul_f16_sdwa v32, v82, v58 dst_sel:DWORD dst_unused:UNUSED_PAD src0_sel:DWORD src1_sel:WORD_1
	v_fma_f16 v87, v35, v58, v32
	v_mul_f16_sdwa v32, v35, v58 dst_sel:DWORD dst_unused:UNUSED_PAD src0_sel:DWORD src1_sel:WORD_1
	v_fma_f16 v58, v82, v58, -v32
	s_waitcnt lgkmcnt(3)
	v_mul_f16_sdwa v32, v89, v59 dst_sel:DWORD dst_unused:UNUSED_PAD src0_sel:DWORD src1_sel:WORD_1
	v_fma_f16 v82, v29, v59, v32
	v_mul_f16_sdwa v29, v29, v59 dst_sel:DWORD dst_unused:UNUSED_PAD src0_sel:DWORD src1_sel:WORD_1
	v_fma_f16 v59, v89, v59, -v29
	s_waitcnt vmcnt(3)
	v_mul_f16_sdwa v29, v83, v60 dst_sel:DWORD dst_unused:UNUSED_PAD src0_sel:DWORD src1_sel:WORD_1
	v_fma_f16 v88, v31, v60, v29
	v_mul_f16_sdwa v29, v31, v60 dst_sel:DWORD dst_unused:UNUSED_PAD src0_sel:DWORD src1_sel:WORD_1
	v_fma_f16 v60, v83, v60, -v29
	s_waitcnt lgkmcnt(2)
	v_mul_f16_sdwa v29, v90, v61 dst_sel:DWORD dst_unused:UNUSED_PAD src0_sel:DWORD src1_sel:WORD_1
	v_fma_f16 v83, v24, v61, v29
	v_mul_f16_sdwa v24, v24, v61 dst_sel:DWORD dst_unused:UNUSED_PAD src0_sel:DWORD src1_sel:WORD_1
	v_fma_f16 v61, v90, v61, -v24
	s_waitcnt vmcnt(2)
	v_mul_f16_sdwa v24, v84, v62 dst_sel:DWORD dst_unused:UNUSED_PAD src0_sel:DWORD src1_sel:WORD_1
	v_fma_f16 v89, v27, v62, v24
	ds_read_u16 v24, v1 offset:3024
	v_mul_f16_sdwa v27, v27, v62 dst_sel:DWORD dst_unused:UNUSED_PAD src0_sel:DWORD src1_sel:WORD_1
	v_fma_f16 v62, v84, v62, -v27
	ds_read_u16 v27, v1 offset:3150
	ds_read_u16 v29, v1 offset:3276
	v_sub_f16_e32 v35, v60, v61
	s_waitcnt lgkmcnt(2)
	v_mul_f16_sdwa v31, v24, v63 dst_sel:DWORD dst_unused:UNUSED_PAD src0_sel:DWORD src1_sel:WORD_1
	v_fma_f16 v84, v33, v63, v31
	v_mul_f16_sdwa v31, v33, v63 dst_sel:DWORD dst_unused:UNUSED_PAD src0_sel:DWORD src1_sel:WORD_1
	v_fma_f16 v63, v24, v63, -v31
	s_waitcnt vmcnt(1)
	v_mul_f16_sdwa v24, v91, v64 dst_sel:DWORD dst_unused:UNUSED_PAD src0_sel:DWORD src1_sel:WORD_1
	v_fma_f16 v90, v28, v64, v24
	v_mul_f16_sdwa v24, v28, v64 dst_sel:DWORD dst_unused:UNUSED_PAD src0_sel:DWORD src1_sel:WORD_1
	v_fma_f16 v64, v91, v64, -v24
	s_waitcnt lgkmcnt(1)
	v_mul_f16_sdwa v24, v27, v65 dst_sel:DWORD dst_unused:UNUSED_PAD src0_sel:DWORD src1_sel:WORD_1
	v_fma_f16 v91, v30, v65, v24
	v_mul_f16_sdwa v24, v30, v65 dst_sel:DWORD dst_unused:UNUSED_PAD src0_sel:DWORD src1_sel:WORD_1
	v_fma_f16 v65, v27, v65, -v24
	s_waitcnt vmcnt(0)
	v_mul_f16_sdwa v24, v92, v66 dst_sel:DWORD dst_unused:UNUSED_PAD src0_sel:DWORD src1_sel:WORD_1
	v_fma_f16 v94, v26, v66, v24
	v_mul_f16_sdwa v24, v26, v66 dst_sel:DWORD dst_unused:UNUSED_PAD src0_sel:DWORD src1_sel:WORD_1
	v_fma_f16 v66, v92, v66, -v24
	s_waitcnt lgkmcnt(0)
	v_mul_f16_sdwa v24, v29, v67 dst_sel:DWORD dst_unused:UNUSED_PAD src0_sel:DWORD src1_sel:WORD_1
	v_fma_f16 v92, v25, v67, v24
	v_mul_f16_sdwa v24, v25, v67 dst_sel:DWORD dst_unused:UNUSED_PAD src0_sel:DWORD src1_sel:WORD_1
	v_fma_f16 v67, v29, v67, -v24
	v_add_f16_e32 v24, v86, v93
	v_fma_f16 v24, v24, -0.5, v23
	v_sub_f16_e32 v25, v46, v43
	v_fma_f16 v26, v25, s6, v24
	v_fma_f16 v24, v25, s7, v24
	ds_read_u16 v25, v1
	ds_read_u16 v95, v1 offset:126
	ds_read_u16 v96, v1 offset:252
	;; [unrolled: 1-line block ×7, first 2 shown]
	s_waitcnt lgkmcnt(7)
	v_add_f16_e32 v27, v25, v46
	v_add_f16_e32 v102, v27, v43
	;; [unrolled: 1-line block ×3, first 2 shown]
	v_fma_f16 v25, v27, -0.5, v25
	v_sub_f16_e32 v27, v86, v93
	v_fma_f16 v43, v27, s7, v25
	v_fma_f16 v46, v27, s6, v25
	v_add_f16_e32 v25, v50, v52
	v_fma_f16 v25, v25, -0.5, v22
	v_sub_f16_e32 v27, v51, v53
	v_fma_f16 v28, v27, s6, v25
	v_fma_f16 v25, v27, s7, v25
	v_add_f16_e32 v27, v78, v79
	;; [unrolled: 5-line block ×5, first 2 shown]
	v_fma_f16 v33, v33, -0.5, v18
	v_fma_f16 v36, v35, s6, v33
	v_fma_f16 v33, v35, s7, v33
	v_add_f16_e32 v35, v89, v84
	v_fma_f16 v35, v35, -0.5, v17
	v_sub_f16_e32 v37, v62, v63
	v_fma_f16 v38, v37, s6, v35
	v_fma_f16 v35, v37, s7, v35
	v_add_f16_e32 v37, v90, v91
	v_fma_f16 v37, v37, -0.5, v16
	v_sub_f16_e32 v39, v64, v65
	v_add_f16_e32 v23, v23, v86
	v_fma_f16 v86, v39, s6, v37
	v_fma_f16 v37, v39, s7, v37
	v_add_f16_e32 v39, v94, v92
	v_add_f16_e32 v23, v23, v93
	v_fma_f16 v39, v39, -0.5, v5
	v_sub_f16_e32 v93, v66, v67
	v_fma_f16 v103, v93, s6, v39
	v_fma_f16 v39, v93, s7, v39
	v_add3_u32 v93, 0, v40, v41
	s_waitcnt lgkmcnt(0)
	; wave barrier
	s_waitcnt lgkmcnt(0)
	ds_write_b16 v93, v23
	ds_write_b16 v93, v26 offset:54
	ds_write_b16 v93, v24 offset:108
	v_lshlrev_b32_sdwa v23, v15, v44 dst_sel:DWORD dst_unused:UNUSED_PAD src0_sel:DWORD src1_sel:BYTE_0
	v_mul_u32_u24_e32 v24, 0xa2, v42
	v_add_f16_e32 v22, v22, v50
	v_add3_u32 v44, 0, v24, v23
	v_add_f16_e32 v22, v22, v52
	ds_write_b16 v44, v22
	ds_write_b16 v44, v28 offset:54
	ds_write_b16 v44, v25 offset:108
	v_lshlrev_b32_sdwa v22, v15, v47 dst_sel:DWORD dst_unused:UNUSED_PAD src0_sel:DWORD src1_sel:BYTE_0
	v_mul_u32_u24_e32 v23, 0xa2, v45
	v_add_f16_e32 v21, v21, v78
	v_add3_u32 v45, 0, v23, v22
	v_add_f16_e32 v21, v21, v79
	ds_write_b16 v45, v21
	ds_write_b16 v45, v30 offset:54
	ds_write_b16 v45, v27 offset:108
	v_lshlrev_b32_sdwa v21, v15, v49 dst_sel:DWORD dst_unused:UNUSED_PAD src0_sel:DWORD src1_sel:BYTE_0
	v_mul_u32_u24_e32 v22, 0xa2, v48
	v_add_f16_e32 v20, v20, v80
	v_add3_u32 v47, 0, v22, v21
	v_add_f16_e32 v20, v20, v81
	ds_write_b16 v47, v20
	ds_write_b16 v47, v32 offset:54
	ds_write_b16 v47, v29 offset:108
	v_lshlrev_b32_e32 v20, 1, v69
	v_mul_u32_u24_e32 v21, 0xa2, v68
	v_add_f16_e32 v19, v19, v87
	v_add3_u32 v48, 0, v21, v20
	v_add_f16_e32 v19, v19, v82
	ds_write_b16 v48, v19
	ds_write_b16 v48, v34 offset:54
	ds_write_b16 v48, v31 offset:108
	v_lshlrev_b32_e32 v19, 1, v71
	v_mul_u32_u24_e32 v20, 0xa2, v70
	v_add_f16_e32 v18, v18, v88
	v_add3_u32 v49, 0, v20, v19
	v_add_f16_e32 v18, v18, v83
	;; [unrolled: 8-line block ×5, first 2 shown]
	ds_write_b16 v70, v5
	ds_write_b16 v70, v103 offset:54
	ds_write_b16 v70, v39 offset:108
	s_waitcnt lgkmcnt(0)
	; wave barrier
	s_waitcnt lgkmcnt(0)
	ds_read_u16 v35, v1 offset:2520
	ds_read_u16 v33, v1 offset:2646
	;; [unrolled: 1-line block ×9, first 2 shown]
	ds_read_u16 v24, v1
	ds_read_u16 v23, v1 offset:126
	ds_read_u16 v22, v1 offset:252
	;; [unrolled: 1-line block ×17, first 2 shown]
	s_waitcnt lgkmcnt(0)
	; wave barrier
	s_waitcnt lgkmcnt(0)
	ds_write_b16 v93, v102
	ds_write_b16 v93, v43 offset:54
	ds_write_b16 v93, v46 offset:108
	v_add_f16_e32 v43, v51, v53
	v_add_f16_e32 v5, v95, v51
	v_fma_f16 v43, v43, -0.5, v95
	v_sub_f16_e32 v46, v50, v52
	v_add_f16_e32 v5, v5, v53
	v_fma_f16 v50, v46, s7, v43
	v_fma_f16 v43, v46, s6, v43
	ds_write_b16 v44, v5
	ds_write_b16 v44, v50 offset:54
	ds_write_b16 v44, v43 offset:108
	v_add_f16_e32 v43, v54, v55
	v_add_f16_e32 v5, v96, v54
	v_fma_f16 v43, v43, -0.5, v96
	v_sub_f16_e32 v44, v78, v79
	v_add_f16_e32 v5, v5, v55
	v_fma_f16 v46, v44, s7, v43
	v_fma_f16 v43, v44, s6, v43
	;; [unrolled: 10-line block ×3, first 2 shown]
	ds_write_b16 v47, v5
	ds_write_b16 v47, v45 offset:54
	ds_write_b16 v47, v43 offset:108
	v_add_f16_e32 v43, v58, v59
	v_add_f16_e32 v46, v60, v61
	;; [unrolled: 1-line block ×5, first 2 shown]
	v_fma_f16 v43, v43, -0.5, v98
	v_sub_f16_e32 v44, v87, v82
	v_fma_f16 v46, v46, -0.5, v99
	v_sub_f16_e32 v47, v88, v83
	;; [unrolled: 2-line block ×4, first 2 shown]
	v_add_f16_e32 v57, v66, v67
	v_add_f16_e32 v5, v5, v59
	v_fma_f16 v45, v44, s7, v43
	v_fma_f16 v43, v44, s6, v43
	v_add_f16_e32 v44, v99, v60
	v_fma_f16 v50, v47, s7, v46
	v_fma_f16 v46, v47, s6, v46
	;; [unrolled: 3-line block ×4, first 2 shown]
	v_add_f16_e32 v55, v85, v66
	v_fma_f16 v57, v57, -0.5, v85
	v_sub_f16_e32 v58, v94, v92
	v_add_f16_e32 v44, v44, v61
	v_add_f16_e32 v47, v47, v63
	;; [unrolled: 1-line block ×4, first 2 shown]
	v_fma_f16 v59, v58, s7, v57
	v_fma_f16 v57, v58, s6, v57
	ds_write_b16 v48, v5
	ds_write_b16 v48, v45 offset:54
	ds_write_b16 v48, v43 offset:108
	ds_write_b16 v49, v44
	ds_write_b16 v49, v50 offset:54
	ds_write_b16 v49, v46 offset:108
	;; [unrolled: 3-line block ×5, first 2 shown]
	v_mov_b32_e32 v5, 0
	v_lshlrev_b64 v[43:44], 2, v[4:5]
	v_mov_b32_e32 v45, s9
	v_add_co_u32_e64 v43, s[0:1], s8, v43
	v_addc_co_u32_e64 v44, s[0:1], v45, v44, s[0:1]
	v_subrev_u32_e32 v4, 18, v0
	v_cmp_gt_u32_e64 s[0:1], 18, v0
	v_cndmask_b32_e64 v4, v4, v9, s[0:1]
	v_lshlrev_b32_e32 v4, 1, v4
	s_waitcnt lgkmcnt(0)
	; wave barrier
	s_waitcnt lgkmcnt(0)
	global_load_dwordx2 v[46:47], v[43:44], off offset:312
	v_lshlrev_b64 v[43:44], 2, v[4:5]
	v_add_co_u32_e64 v43, s[0:1], s8, v43
	v_addc_co_u32_e64 v44, s[0:1], v45, v44, s[0:1]
	s_movk_i32 s0, 0xcb
	v_mul_lo_u16_sdwa v5, v7, s0 dst_sel:DWORD dst_unused:UNUSED_PAD src0_sel:BYTE_0 src1_sel:DWORD
	global_load_dwordx2 v[48:49], v[43:44], off offset:312
	v_lshrrev_b16_e32 v43, 14, v5
	v_mul_lo_u16_e32 v5, 0x51, v43
	v_sub_u16_e32 v5, v7, v5
	v_lshlrev_b32_sdwa v9, v8, v5 dst_sel:DWORD dst_unused:UNUSED_PAD src0_sel:DWORD src1_sel:BYTE_0
	global_load_dwordx2 v[50:51], v9, s[8:9] offset:312
	v_mul_lo_u16_sdwa v9, v6, s0 dst_sel:DWORD dst_unused:UNUSED_PAD src0_sel:BYTE_0 src1_sel:DWORD
	s_movk_i32 s0, 0x6523
	v_mul_u32_u24_sdwa v45, v10, s0 dst_sel:DWORD dst_unused:UNUSED_PAD src0_sel:WORD_0 src1_sel:DWORD
	v_lshrrev_b32_e32 v45, 21, v45
	v_mul_lo_u16_e32 v45, 0x51, v45
	v_sub_u16_e32 v79, v10, v45
	v_mul_u32_u24_sdwa v45, v12, s0 dst_sel:DWORD dst_unused:UNUSED_PAD src0_sel:WORD_0 src1_sel:DWORD
	v_lshrrev_b32_e32 v85, 21, v45
	v_mul_lo_u16_e32 v45, 0x51, v85
	v_sub_u16_e32 v12, v12, v45
	v_lshlrev_b32_e32 v45, 3, v12
	global_load_dwordx2 v[65:66], v45, s[8:9] offset:312
	v_mul_u32_u24_sdwa v45, v14, s0 dst_sel:DWORD dst_unused:UNUSED_PAD src0_sel:WORD_0 src1_sel:DWORD
	v_lshrrev_b32_e32 v90, 21, v45
	v_mul_lo_u16_e32 v45, 0x51, v90
	v_lshrrev_b16_e32 v44, 14, v9
	v_sub_u16_e32 v91, v14, v45
	v_mul_lo_u16_e32 v9, 0x51, v44
	v_lshlrev_b32_e32 v14, 3, v91
	v_sub_u16_e32 v52, v6, v9
	global_load_dwordx2 v[72:73], v14, s[8:9] offset:312
	v_mul_u32_u24_sdwa v14, v13, s0 dst_sel:DWORD dst_unused:UNUSED_PAD src0_sel:WORD_0 src1_sel:DWORD
	v_lshlrev_b32_sdwa v8, v8, v52 dst_sel:DWORD dst_unused:UNUSED_PAD src0_sel:DWORD src1_sel:BYTE_0
	v_lshrrev_b32_e32 v14, 21, v14
	global_load_dwordx2 v[8:9], v8, s[8:9] offset:312
	v_mul_lo_u16_e32 v14, 0x51, v14
	v_sub_u16_e32 v92, v13, v14
	v_lshlrev_b32_e32 v10, 3, v79
	global_load_dwordx2 v[61:62], v10, s[8:9] offset:312
	v_lshlrev_b32_e32 v13, 3, v92
	global_load_dwordx2 v[77:78], v13, s[8:9] offset:312
	v_mul_u32_u24_sdwa v10, v11, s0 dst_sel:DWORD dst_unused:UNUSED_PAD src0_sel:WORD_0 src1_sel:DWORD
	v_lshrrev_b32_e32 v81, 21, v10
	v_mul_lo_u16_e32 v10, 0x51, v81
	v_sub_u16_e32 v83, v11, v10
	v_lshlrev_b32_e32 v10, 3, v83
	global_load_dwordx2 v[10:11], v10, s[8:9] offset:312
	ds_read_u16 v14, v1 offset:1134
	ds_read_u16 v53, v1 offset:1260
	;; [unrolled: 1-line block ×8, first 2 shown]
	v_cmp_lt_u32_e64 s[0:1], 17, v0
	s_waitcnt vmcnt(8) lgkmcnt(7)
	v_mul_f16_sdwa v13, v14, v46 dst_sel:DWORD dst_unused:UNUSED_PAD src0_sel:DWORD src1_sel:WORD_1
	v_fma_f16 v13, v42, v46, v13
	v_mul_f16_sdwa v42, v42, v46 dst_sel:DWORD dst_unused:UNUSED_PAD src0_sel:DWORD src1_sel:WORD_1
	v_fma_f16 v14, v14, v46, -v42
	ds_read_u16 v42, v1 offset:2268
	ds_read_u16 v59, v1 offset:2394
	;; [unrolled: 1-line block ×7, first 2 shown]
	s_waitcnt lgkmcnt(6)
	v_mul_f16_sdwa v46, v42, v47 dst_sel:DWORD dst_unused:UNUSED_PAD src0_sel:DWORD src1_sel:WORD_1
	v_fma_f16 v46, v41, v47, v46
	v_mul_f16_sdwa v41, v41, v47 dst_sel:DWORD dst_unused:UNUSED_PAD src0_sel:DWORD src1_sel:WORD_1
	v_fma_f16 v57, v42, v47, -v41
	s_waitcnt vmcnt(7)
	v_mul_f16_sdwa v41, v53, v48 dst_sel:DWORD dst_unused:UNUSED_PAD src0_sel:DWORD src1_sel:WORD_1
	v_fma_f16 v41, v39, v48, v41
	v_mul_f16_sdwa v39, v39, v48 dst_sel:DWORD dst_unused:UNUSED_PAD src0_sel:DWORD src1_sel:WORD_1
	v_fma_f16 v53, v53, v48, -v39
	s_waitcnt lgkmcnt(5)
	v_mul_f16_sdwa v39, v59, v49 dst_sel:DWORD dst_unused:UNUSED_PAD src0_sel:DWORD src1_sel:WORD_1
	v_fma_f16 v54, v40, v49, v39
	v_mul_f16_sdwa v39, v40, v49 dst_sel:DWORD dst_unused:UNUSED_PAD src0_sel:DWORD src1_sel:WORD_1
	v_fma_f16 v60, v59, v49, -v39
	s_waitcnt vmcnt(6)
	v_mul_f16_sdwa v39, v55, v50 dst_sel:DWORD dst_unused:UNUSED_PAD src0_sel:DWORD src1_sel:WORD_1
	v_fma_f16 v42, v38, v50, v39
	v_mul_f16_sdwa v38, v38, v50 dst_sel:DWORD dst_unused:UNUSED_PAD src0_sel:DWORD src1_sel:WORD_1
	s_waitcnt lgkmcnt(4)
	v_mul_f16_sdwa v39, v63, v51 dst_sel:DWORD dst_unused:UNUSED_PAD src0_sel:DWORD src1_sel:WORD_1
	v_fma_f16 v38, v55, v50, -v38
	v_fma_f16 v55, v35, v51, v39
	v_mul_f16_sdwa v35, v35, v51 dst_sel:DWORD dst_unused:UNUSED_PAD src0_sel:DWORD src1_sel:WORD_1
	v_fma_f16 v63, v63, v51, -v35
	s_waitcnt vmcnt(3)
	v_mul_f16_sdwa v35, v56, v8 dst_sel:DWORD dst_unused:UNUSED_PAD src0_sel:DWORD src1_sel:WORD_1
	v_fma_f16 v35, v37, v8, v35
	v_mul_f16_sdwa v37, v37, v8 dst_sel:DWORD dst_unused:UNUSED_PAD src0_sel:DWORD src1_sel:WORD_1
	v_fma_f16 v37, v56, v8, -v37
	s_waitcnt lgkmcnt(3)
	v_mul_f16_sdwa v8, v64, v9 dst_sel:DWORD dst_unused:UNUSED_PAD src0_sel:DWORD src1_sel:WORD_1
	v_fma_f16 v56, v33, v9, v8
	v_mul_f16_sdwa v8, v33, v9 dst_sel:DWORD dst_unused:UNUSED_PAD src0_sel:DWORD src1_sel:WORD_1
	v_fma_f16 v64, v64, v9, -v8
	s_waitcnt vmcnt(2)
	v_mul_f16_sdwa v8, v58, v61 dst_sel:DWORD dst_unused:UNUSED_PAD src0_sel:DWORD src1_sel:WORD_1
	v_fma_f16 v33, v36, v61, v8
	v_mul_f16_sdwa v8, v36, v61 dst_sel:DWORD dst_unused:UNUSED_PAD src0_sel:DWORD src1_sel:WORD_1
	v_fma_f16 v58, v58, v61, -v8
	s_waitcnt lgkmcnt(2)
	v_mul_f16_sdwa v8, v67, v62 dst_sel:DWORD dst_unused:UNUSED_PAD src0_sel:DWORD src1_sel:WORD_1
	;; [unrolled: 10-line block ×3, first 2 shown]
	v_fma_f16 v62, v26, v11, v8
	v_mul_f16_sdwa v8, v26, v11 dst_sel:DWORD dst_unused:UNUSED_PAD src0_sel:DWORD src1_sel:WORD_1
	v_fma_f16 v69, v69, v11, -v8
	v_mul_f16_sdwa v8, v70, v65 dst_sel:DWORD dst_unused:UNUSED_PAD src0_sel:DWORD src1_sel:WORD_1
	ds_read_u16 v9, v1 offset:3024
	v_fma_f16 v32, v29, v65, v8
	v_mul_f16_sdwa v8, v29, v65 dst_sel:DWORD dst_unused:UNUSED_PAD src0_sel:DWORD src1_sel:WORD_1
	v_fma_f16 v65, v70, v65, -v8
	ds_read_u16 v8, v1 offset:3150
	ds_read_u16 v10, v1 offset:3276
	;; [unrolled: 1-line block ×3, first 2 shown]
	s_waitcnt lgkmcnt(3)
	v_mul_f16_sdwa v26, v9, v66 dst_sel:DWORD dst_unused:UNUSED_PAD src0_sel:DWORD src1_sel:WORD_1
	v_fma_f16 v70, v34, v66, v26
	v_mul_f16_sdwa v26, v34, v66 dst_sel:DWORD dst_unused:UNUSED_PAD src0_sel:DWORD src1_sel:WORD_1
	v_fma_f16 v75, v9, v66, -v26
	s_waitcnt lgkmcnt(0)
	v_mul_f16_sdwa v9, v11, v72 dst_sel:DWORD dst_unused:UNUSED_PAD src0_sel:DWORD src1_sel:WORD_1
	v_fma_f16 v34, v28, v72, v9
	v_mul_f16_sdwa v9, v28, v72 dst_sel:DWORD dst_unused:UNUSED_PAD src0_sel:DWORD src1_sel:WORD_1
	v_fma_f16 v71, v11, v72, -v9
	v_mul_f16_sdwa v9, v8, v73 dst_sel:DWORD dst_unused:UNUSED_PAD src0_sel:DWORD src1_sel:WORD_1
	v_fma_f16 v72, v31, v73, v9
	v_mul_f16_sdwa v9, v31, v73 dst_sel:DWORD dst_unused:UNUSED_PAD src0_sel:DWORD src1_sel:WORD_1
	v_fma_f16 v76, v8, v73, -v9
	;; [unrolled: 4-line block ×4, first 2 shown]
	v_mov_b32_e32 v8, 0x1e6
	v_cndmask_b32_e64 v8, 0, v8, s[0:1]
	v_add3_u32 v66, 0, v8, v4
	v_add_f16_e32 v4, v13, v46
	v_lshlrev_b32_sdwa v10, v15, v5 dst_sel:DWORD dst_unused:UNUSED_PAD src0_sel:DWORD src1_sel:BYTE_0
	v_fma_f16 v4, v4, -0.5, v24
	v_sub_f16_e32 v5, v14, v57
	v_fma_f16 v25, v5, s6, v4
	v_fma_f16 v26, v5, s7, v4
	v_add_f16_e32 v4, v41, v54
	v_fma_f16 v4, v4, -0.5, v23
	v_sub_f16_e32 v5, v53, v60
	v_fma_f16 v27, v5, s6, v4
	v_fma_f16 v28, v5, s7, v4
	v_add_f16_e32 v4, v42, v55
	;; [unrolled: 5-line block ×8, first 2 shown]
	v_lshlrev_b32_sdwa v11, v15, v52 dst_sel:DWORD dst_unused:UNUSED_PAD src0_sel:DWORD src1_sel:BYTE_0
	v_fma_f16 v9, v8, -0.5, v17
	v_sub_f16_e32 v15, v73, v77
	v_fma_f16 v8, v15, s6, v9
	v_fma_f16 v9, v15, s7, v9
	v_add_f16_e32 v15, v24, v13
	v_add_f16_e32 v23, v23, v41
	;; [unrolled: 1-line block ×4, first 2 shown]
	ds_read_u16 v89, v1
	ds_read_u16 v88, v1 offset:126
	ds_read_u16 v87, v1 offset:252
	;; [unrolled: 1-line block ×7, first 2 shown]
	s_waitcnt lgkmcnt(0)
	; wave barrier
	s_waitcnt lgkmcnt(0)
	ds_write_b16 v1, v24
	ds_write_b16 v1, v25 offset:162
	ds_write_b16 v1, v26 offset:324
	ds_write_b16 v66, v23
	ds_write_b16 v66, v27 offset:162
	ds_write_b16 v66, v28 offset:324
	v_mul_u32_u24_e32 v23, 0x1e6, v43
	v_add3_u32 v78, 0, v23, v10
	v_add_f16_e32 v10, v22, v42
	v_add_f16_e32 v10, v10, v55
	ds_write_b16 v78, v10
	ds_write_b16 v78, v29 offset:162
	ds_write_b16 v78, v30 offset:324
	v_mul_u32_u24_e32 v10, 0x1e6, v44
	v_add3_u32 v44, 0, v10, v11
	v_add_f16_e32 v10, v21, v35
	v_add_f16_e32 v10, v10, v56
	ds_write_b16 v44, v10
	ds_write_b16 v44, v31 offset:162
	ds_write_b16 v44, v39 offset:324
	v_add_f16_e32 v10, v20, v33
	v_add_f16_e32 v10, v10, v59
	v_lshl_add_u32 v20, v79, 1, 0
	ds_write_b16 v20, v10 offset:1458
	ds_write_b16 v20, v40 offset:1620
	;; [unrolled: 1-line block ×3, first 2 shown]
	v_lshlrev_b32_e32 v10, 1, v83
	v_mul_u32_u24_e32 v11, 0x1e6, v81
	v_add3_u32 v79, 0, v11, v10
	v_add_f16_e32 v10, v19, v36
	v_add_f16_e32 v10, v10, v62
	ds_write_b16 v79, v10
	ds_write_b16 v79, v48 offset:162
	ds_write_b16 v79, v49 offset:324
	v_lshlrev_b32_e32 v10, 1, v12
	v_mul_u32_u24_e32 v11, 0x1e6, v85
	v_add3_u32 v81, 0, v11, v10
	v_add_f16_e32 v10, v18, v32
	v_add_f16_e32 v10, v10, v70
	ds_write_b16 v81, v10
	ds_write_b16 v81, v50 offset:162
	ds_write_b16 v81, v51 offset:324
	v_lshlrev_b32_e32 v10, 1, v91
	v_mul_u32_u24_e32 v11, 0x1e6, v90
	v_add3_u32 v83, 0, v11, v10
	v_add_f16_e32 v10, v16, v34
	v_add_f16_e32 v11, v17, v68
	;; [unrolled: 1-line block ×4, first 2 shown]
	v_lshl_add_u32 v85, v92, 1, 0
	ds_write_b16 v83, v10
	ds_write_b16 v83, v4 offset:162
	ds_write_b16 v83, v5 offset:324
	;; [unrolled: 1-line block ×5, first 2 shown]
	s_waitcnt lgkmcnt(0)
	; wave barrier
	s_waitcnt lgkmcnt(0)
	ds_read_u16 v19, v1
	ds_read_u16 v27, v1 offset:126
	ds_read_u16 v29, v1 offset:2556
	;; [unrolled: 1-line block ×20, first 2 shown]
	v_cmp_gt_u32_e64 s[0:1], 54, v0
                                        ; implicit-def: $vgpr12
	s_and_saveexec_b64 s[4:5], s[0:1]
	s_cbranch_execz .LBB0_13
; %bb.12:
	ds_read_u16 v10, v1 offset:378
	ds_read_u16 v4, v1 offset:864
	;; [unrolled: 1-line block ×7, first 2 shown]
.LBB0_13:
	s_or_b64 exec, exec, s[4:5]
	v_add_f16_e32 v16, v89, v14
	v_add_f16_e32 v14, v14, v57
	v_fma_f16 v14, v14, -0.5, v89
	v_sub_f16_e32 v13, v13, v46
	v_add_f16_e32 v90, v16, v57
	v_fma_f16 v46, v13, s7, v14
	v_fma_f16 v57, v13, s6, v14
	v_add_f16_e32 v13, v88, v53
	v_add_f16_e32 v89, v13, v60
	v_add_f16_e32 v13, v53, v60
	v_fma_f16 v13, v13, -0.5, v88
	v_sub_f16_e32 v14, v41, v54
	v_fma_f16 v41, v14, s7, v13
	v_fma_f16 v53, v14, s6, v13
	v_add_f16_e32 v13, v87, v38
	v_add_f16_e32 v54, v13, v63
	v_add_f16_e32 v13, v38, v63
	v_fma_f16 v13, v13, -0.5, v87
	v_sub_f16_e32 v14, v42, v55
	;; [unrolled: 7-line block ×6, first 2 shown]
	v_fma_f16 v32, v14, s7, v13
	v_fma_f16 v62, v14, s6, v13
	v_add_f16_e32 v14, v71, v76
	v_add_f16_e32 v13, v15, v71
	v_fma_f16 v15, v14, -0.5, v15
	v_sub_f16_e32 v16, v34, v72
	v_add_f16_e32 v17, v73, v77
	v_fma_f16 v14, v16, s7, v15
	v_fma_f16 v15, v16, s6, v15
	v_add_f16_e32 v16, v45, v73
	v_fma_f16 v18, v17, -0.5, v45
	v_sub_f16_e32 v34, v68, v74
	v_add_f16_e32 v13, v13, v76
	v_add_f16_e32 v16, v16, v77
	v_fma_f16 v17, v34, s7, v18
	v_fma_f16 v18, v34, s6, v18
	s_waitcnt lgkmcnt(0)
	; wave barrier
	s_waitcnt lgkmcnt(0)
	ds_write_b16 v1, v90
	ds_write_b16 v1, v46 offset:162
	ds_write_b16 v1, v57 offset:324
	ds_write_b16 v66, v89
	ds_write_b16 v66, v41 offset:162
	ds_write_b16 v66, v53 offset:324
	;; [unrolled: 3-line block ×4, first 2 shown]
	ds_write_b16 v20, v56 offset:1458
	ds_write_b16 v20, v33 offset:1620
	ds_write_b16 v20, v58 offset:1782
	ds_write_b16 v79, v59
	ds_write_b16 v79, v36 offset:162
	ds_write_b16 v79, v60 offset:324
	ds_write_b16 v81, v61
	ds_write_b16 v81, v32 offset:162
	ds_write_b16 v81, v62 offset:324
	;; [unrolled: 3-line block ×3, first 2 shown]
	ds_write_b16 v85, v16 offset:2916
	ds_write_b16 v85, v17 offset:3078
	;; [unrolled: 1-line block ×3, first 2 shown]
	s_waitcnt lgkmcnt(0)
	; wave barrier
	s_waitcnt lgkmcnt(0)
	ds_read_u16 v32, v1
	ds_read_u16 v41, v1 offset:126
	ds_read_u16 v53, v1 offset:612
	;; [unrolled: 1-line block ×20, first 2 shown]
                                        ; implicit-def: $vgpr20
	s_and_saveexec_b64 s[4:5], s[0:1]
	s_cbranch_execz .LBB0_15
; %bb.14:
	ds_read_u16 v13, v1 offset:378
	ds_read_u16 v14, v1 offset:864
	;; [unrolled: 1-line block ×7, first 2 shown]
.LBB0_15:
	s_or_b64 exec, exec, s[4:5]
	s_and_saveexec_b64 s[4:5], vcc
	s_cbranch_execz .LBB0_18
; %bb.16:
	v_mul_u32_u24_e32 v1, 6, v0
	v_lshlrev_b32_e32 v1, 2, v1
	v_add_u32_e32 v66, 0xbd0, v1
	global_load_dwordx4 v[62:65], v66, s[8:9] offset:960
	global_load_dwordx2 v[70:71], v66, s[8:9] offset:976
	v_add_u32_e32 v74, 0x5e8, v1
	global_load_dwordx4 v[66:69], v74, s[8:9] offset:960
	global_load_dwordx2 v[72:73], v74, s[8:9] offset:976
	s_mov_b32 s5, 0xb574
	s_movk_i32 s14, 0x3a52
	s_mov_b32 s6, 0xbcab
	s_mov_b32 s10, 0xbb00
	;; [unrolled: 1-line block ×3, first 2 shown]
	s_movk_i32 s13, 0x39e0
	s_mov_b32 s4, 0xb70e
	s_movk_i32 s11, 0x3574
	s_movk_i32 s7, 0x2b26
	s_waitcnt vmcnt(3) lgkmcnt(12)
	v_mul_f16_sdwa v74, v56, v62 dst_sel:DWORD dst_unused:UNUSED_PAD src0_sel:DWORD src1_sel:WORD_1
	s_waitcnt vmcnt(2) lgkmcnt(2)
	v_mul_f16_sdwa v75, v61, v71 dst_sel:DWORD dst_unused:UNUSED_PAD src0_sel:DWORD src1_sel:WORD_1
	v_mul_f16_sdwa v76, v57, v65 dst_sel:DWORD dst_unused:UNUSED_PAD src0_sel:DWORD src1_sel:WORD_1
	;; [unrolled: 1-line block ×4, first 2 shown]
	s_waitcnt lgkmcnt(0)
	v_mul_f16_sdwa v79, v60, v70 dst_sel:DWORD dst_unused:UNUSED_PAD src0_sel:DWORD src1_sel:WORD_1
	v_mul_f16_sdwa v80, v52, v71 dst_sel:DWORD dst_unused:UNUSED_PAD src0_sel:DWORD src1_sel:WORD_1
	;; [unrolled: 1-line block ×7, first 2 shown]
	v_fma_f16 v47, v47, v62, v74
	v_fma_f16 v52, v52, v71, v75
	;; [unrolled: 1-line block ×6, first 2 shown]
	v_fma_f16 v61, v61, v71, -v80
	v_fma_f16 v56, v56, v62, -v81
	;; [unrolled: 1-line block ×6, first 2 shown]
	v_sub_f16_e32 v62, v47, v52
	v_sub_f16_e32 v63, v48, v49
	v_add_f16_e32 v65, v56, v61
	v_add_f16_e32 v71, v58, v60
	;; [unrolled: 1-line block ×5, first 2 shown]
	v_sub_f16_e32 v64, v50, v51
	v_add_f16_e32 v70, v57, v59
	v_sub_f16_e32 v50, v56, v61
	v_sub_f16_e32 v51, v57, v59
	;; [unrolled: 1-line block ×3, first 2 shown]
	v_add_f16_e32 v61, v65, v71
	v_add_f16_e32 v75, v47, v49
	v_sub_f16_e32 v56, v62, v63
	v_sub_f16_e32 v57, v63, v64
	v_add_f16_e32 v58, v63, v64
	v_sub_f16_e32 v60, v70, v71
	v_sub_f16_e32 v63, v47, v48
	;; [unrolled: 1-line block ×5, first 2 shown]
	v_add_f16_e32 v51, v51, v52
	v_add_f16_e32 v61, v70, v61
	;; [unrolled: 1-line block ×3, first 2 shown]
	v_sub_f16_e32 v59, v65, v70
	v_sub_f16_e32 v64, v64, v62
	;; [unrolled: 1-line block ×3, first 2 shown]
	v_mul_f16_e32 v57, 0x3846, v57
	v_mul_f16_e32 v60, 0x2b26, v60
	;; [unrolled: 1-line block ×5, first 2 shown]
	v_add_f16_e32 v51, v50, v51
	v_add_f16_e32 v55, v55, v61
	v_add_f16_e32 v43, v43, v48
	v_sub_f16_e32 v47, v49, v47
	v_sub_f16_e32 v50, v52, v50
	v_add_f16_e32 v58, v62, v58
	v_mul_f16_e32 v62, 0x3a52, v59
	v_mul_f16_e32 v75, 0xbb00, v64
	v_fma_f16 v77, v56, s5, v57
	v_fma_f16 v59, v59, s14, v60
	;; [unrolled: 1-line block ×4, first 2 shown]
	v_fma_f16 v49, v47, s12, -v70
	v_mul_f16_e32 v52, 0xbb00, v50
	v_fma_f16 v60, v65, s13, -v60
	v_fma_f16 v57, v64, s10, -v57
	;; [unrolled: 1-line block ×4, first 2 shown]
	v_fma_f16 v78, v76, s5, v74
	v_fma_f16 v56, v56, s11, -v75
	v_fma_f16 v62, v65, s12, -v62
	;; [unrolled: 1-line block ×3, first 2 shown]
	v_add_f16_e32 v60, v60, v61
	v_fma_f16 v57, v58, s4, v57
	v_fma_f16 v50, v51, s4, v50
	v_add_f16_e32 v47, v47, v48
	v_fma_f16 v63, v63, s14, v71
	v_fma_f16 v75, v58, s4, v77
	;; [unrolled: 1-line block ×4, first 2 shown]
	v_add_f16_e32 v62, v62, v61
	v_fma_f16 v52, v51, s4, v52
	v_sub_f16_e32 v58, v60, v57
	v_add_f16_e32 v51, v50, v47
	v_add_f16_e32 v57, v57, v60
	v_sub_f16_e32 v60, v47, v50
	s_waitcnt vmcnt(1)
	v_mul_f16_sdwa v47, v53, v66 dst_sel:DWORD dst_unused:UNUSED_PAD src0_sel:DWORD src1_sel:WORD_1
	v_add_f16_e32 v63, v63, v48
	v_add_f16_e32 v80, v56, v62
	v_sub_f16_e32 v56, v62, v56
	v_fma_f16 v62, v39, v66, v47
	s_waitcnt vmcnt(0)
	v_mul_f16_sdwa v47, v54, v73 dst_sel:DWORD dst_unused:UNUSED_PAD src0_sel:DWORD src1_sel:WORD_1
	v_add_f16_e32 v59, v59, v61
	v_sub_f16_e32 v79, v63, v77
	v_add_f16_e32 v49, v49, v48
	v_add_f16_e32 v61, v77, v63
	v_fma_f16 v63, v40, v73, v47
	v_mul_f16_sdwa v47, v45, v69 dst_sel:DWORD dst_unused:UNUSED_PAD src0_sel:DWORD src1_sel:WORD_1
	v_mul_f16_sdwa v48, v42, v67 dst_sel:DWORD dst_unused:UNUSED_PAD src0_sel:DWORD src1_sel:WORD_1
	v_add_f16_e32 v78, v75, v59
	v_sub_f16_e32 v59, v59, v75
	v_fma_f16 v65, v30, v69, v47
	v_mul_f16_sdwa v47, v46, v68 dst_sel:DWORD dst_unused:UNUSED_PAD src0_sel:DWORD src1_sel:WORD_1
	v_fma_f16 v75, v28, v67, v48
	v_mul_f16_sdwa v48, v44, v72 dst_sel:DWORD dst_unused:UNUSED_PAD src0_sel:DWORD src1_sel:WORD_1
	v_fma_f16 v71, v31, v68, v47
	v_fma_f16 v76, v29, v72, v48
	v_sub_f16_e32 v47, v65, v71
	v_sub_f16_e32 v77, v75, v76
	v_sub_f16_e32 v64, v62, v63
	v_sub_f16_e32 v48, v47, v77
	v_sub_f16_e32 v74, v64, v47
	v_mul_f16_e32 v81, 0x3846, v48
	v_add_f16_e32 v47, v47, v77
	v_fma_f16 v48, v74, s5, v81
	v_add_f16_e32 v82, v64, v47
	v_mul_f16_sdwa v40, v40, v73 dst_sel:DWORD dst_unused:UNUSED_PAD src0_sel:DWORD src1_sel:WORD_1
	v_mul_f16_sdwa v39, v39, v66 dst_sel:DWORD dst_unused:UNUSED_PAD src0_sel:DWORD src1_sel:WORD_1
	v_sub_f16_e32 v70, v49, v52
	v_add_f16_e32 v52, v52, v49
	v_fma_f16 v83, v82, s4, v48
	v_fma_f16 v54, v54, v73, -v40
	v_fma_f16 v53, v53, v66, -v39
	global_load_dwordx4 v[47:50], v1, s[8:9] offset:960
	global_load_dwordx2 v[39:40], v1, s[8:9] offset:976
	v_mul_f16_sdwa v29, v29, v72 dst_sel:DWORD dst_unused:UNUSED_PAD src0_sel:DWORD src1_sel:WORD_1
	v_mul_f16_sdwa v28, v28, v67 dst_sel:DWORD dst_unused:UNUSED_PAD src0_sel:DWORD src1_sel:WORD_1
	;; [unrolled: 1-line block ×4, first 2 shown]
	v_fma_f16 v29, v44, v72, -v29
	v_fma_f16 v28, v42, v67, -v28
	v_add_f16_e32 v66, v53, v54
	v_fma_f16 v1, v46, v68, -v1
	v_fma_f16 v30, v45, v69, -v30
	v_add_f16_e32 v42, v28, v29
	v_add_f16_e32 v31, v30, v1
	;; [unrolled: 1-line block ×5, first 2 shown]
	v_sub_f16_e32 v53, v53, v54
	v_sub_f16_e32 v1, v30, v1
	;; [unrolled: 1-line block ×5, first 2 shown]
	v_add_f16_e32 v31, v31, v67
	v_add_f16_e32 v63, v65, v71
	;; [unrolled: 1-line block ×3, first 2 shown]
	v_sub_f16_e32 v30, v53, v1
	v_sub_f16_e32 v29, v1, v28
	v_add_f16_e32 v1, v1, v28
	v_sub_f16_e32 v28, v28, v53
	v_mul_f16_e32 v46, 0x3a52, v45
	v_mul_f16_e32 v44, 0x2b26, v44
	v_add_f16_e32 v41, v41, v31
	v_sub_f16_e32 v65, v62, v63
	v_sub_f16_e32 v71, v63, v69
	v_add_f16_e32 v63, v63, v72
	v_mul_f16_e32 v29, 0x3846, v29
	v_add_f16_e32 v1, v53, v1
	v_sub_f16_e32 v64, v77, v64
	v_sub_f16_e32 v42, v42, v66
	v_mul_f16_e32 v53, 0xbb00, v28
	v_fma_f16 v45, v45, s14, v44
	v_fma_f16 v31, v31, s6, v41
	v_mul_f16_e32 v71, 0x2b26, v71
	v_add_f16_e32 v27, v27, v63
	v_fma_f16 v54, v30, s5, v29
	v_mul_f16_e32 v73, 0xbb00, v64
	v_fma_f16 v46, v42, s12, -v46
	v_sub_f16_e32 v62, v69, v62
	v_fma_f16 v30, v30, s11, -v53
	v_fma_f16 v42, v42, s13, -v44
	;; [unrolled: 1-line block ×3, first 2 shown]
	v_add_f16_e32 v45, v45, v31
	v_mul_f16_e32 v68, 0x3a52, v65
	v_fma_f16 v65, v65, s14, v71
	v_fma_f16 v63, v63, s6, v27
	;; [unrolled: 1-line block ×3, first 2 shown]
	v_fma_f16 v73, v74, s11, -v73
	v_add_f16_e32 v46, v46, v31
	v_fma_f16 v30, v1, s4, v30
	v_add_f16_e32 v31, v42, v31
	v_fma_f16 v42, v64, s10, -v81
	v_fma_f16 v1, v1, s4, v28
	v_fma_f16 v28, v62, s13, -v71
	v_add_f16_e32 v65, v65, v63
	v_fma_f16 v73, v82, s4, v73
	v_fma_f16 v42, v82, s4, v42
	v_add_f16_e32 v28, v28, v63
	v_sub_f16_e32 v72, v65, v54
	v_add_f16_e32 v66, v73, v46
	v_fma_f16 v68, v62, s12, -v68
	v_sub_f16_e32 v44, v31, v42
	v_add_f16_e32 v29, v1, v28
	v_add_f16_e32 v31, v42, v31
	v_sub_f16_e32 v28, v28, v1
	v_sub_f16_e32 v42, v46, v73
	v_add_f16_e32 v46, v54, v65
	v_add_f16_e32 v68, v68, v63
	v_sub_f16_e32 v53, v68, v30
	v_add_f16_e32 v30, v30, v68
	v_add_f16_e32 v67, v83, v45
	v_sub_f16_e32 v45, v45, v83
	s_waitcnt vmcnt(1)
	v_mul_f16_sdwa v1, v35, v47 dst_sel:DWORD dst_unused:UNUSED_PAD src0_sel:DWORD src1_sel:WORD_1
	s_waitcnt vmcnt(0)
	v_mul_f16_sdwa v54, v38, v40 dst_sel:DWORD dst_unused:UNUSED_PAD src0_sel:DWORD src1_sel:WORD_1
	v_mul_f16_sdwa v69, v33, v48 dst_sel:DWORD dst_unused:UNUSED_PAD src0_sel:DWORD src1_sel:WORD_1
	;; [unrolled: 1-line block ×3, first 2 shown]
	v_fma_f16 v1, v23, v47, v1
	v_fma_f16 v54, v26, v40, v54
	v_mul_f16_sdwa v63, v36, v50 dst_sel:DWORD dst_unused:UNUSED_PAD src0_sel:DWORD src1_sel:WORD_1
	v_mul_f16_sdwa v64, v37, v49 dst_sel:DWORD dst_unused:UNUSED_PAD src0_sel:DWORD src1_sel:WORD_1
	v_fma_f16 v69, v21, v48, v69
	v_fma_f16 v71, v22, v39, v71
	v_mul_f16_sdwa v26, v26, v40 dst_sel:DWORD dst_unused:UNUSED_PAD src0_sel:DWORD src1_sel:WORD_1
	v_mul_f16_sdwa v23, v23, v47 dst_sel:DWORD dst_unused:UNUSED_PAD src0_sel:DWORD src1_sel:WORD_1
	;; [unrolled: 1-line block ×4, first 2 shown]
	v_fma_f16 v63, v24, v50, v63
	v_fma_f16 v64, v25, v49, v64
	v_fma_f16 v26, v38, v40, -v26
	v_fma_f16 v23, v35, v47, -v23
	v_mul_f16_sdwa v25, v25, v49 dst_sel:DWORD dst_unused:UNUSED_PAD src0_sel:DWORD src1_sel:WORD_1
	v_mul_f16_sdwa v24, v24, v50 dst_sel:DWORD dst_unused:UNUSED_PAD src0_sel:DWORD src1_sel:WORD_1
	v_fma_f16 v22, v34, v39, -v22
	v_fma_f16 v21, v33, v48, -v21
	v_sub_f16_e32 v62, v1, v54
	v_sub_f16_e32 v65, v63, v64
	;; [unrolled: 1-line block ×3, first 2 shown]
	v_add_f16_e32 v35, v23, v26
	v_fma_f16 v25, v37, v49, -v25
	v_fma_f16 v24, v36, v50, -v24
	v_add_f16_e32 v33, v21, v22
	v_add_f16_e32 v1, v1, v54
	;; [unrolled: 1-line block ×3, first 2 shown]
	v_sub_f16_e32 v68, v62, v65
	v_sub_f16_e32 v74, v65, v73
	v_add_f16_e32 v65, v65, v73
	v_add_f16_e32 v36, v24, v25
	;; [unrolled: 1-line block ×5, first 2 shown]
	v_sub_f16_e32 v24, v24, v25
	v_sub_f16_e32 v21, v21, v22
	v_add_f16_e32 v65, v62, v65
	v_sub_f16_e32 v37, v35, v36
	v_sub_f16_e32 v34, v36, v33
	v_add_f16_e32 v36, v36, v39
	;; [unrolled: 3-line block ×3, first 2 shown]
	v_sub_f16_e32 v23, v23, v26
	v_sub_f16_e32 v22, v24, v21
	v_sub_f16_e32 v62, v73, v62
	v_mul_f16_e32 v74, 0x3846, v74
	v_mul_f16_e32 v38, 0x3a52, v37
	;; [unrolled: 1-line block ×3, first 2 shown]
	v_add_f16_e32 v32, v32, v36
	v_mul_f16_e32 v48, 0x3a52, v47
	v_mul_f16_e32 v50, 0x2b26, v50
	v_add_f16_e32 v19, v19, v40
	v_sub_f16_e32 v25, v23, v24
	v_mul_f16_e32 v22, 0x3846, v22
	v_add_f16_e32 v24, v24, v21
	v_mul_f16_e32 v63, 0xbb00, v62
	v_sub_f16_e32 v33, v33, v35
	v_sub_f16_e32 v1, v49, v1
	;; [unrolled: 1-line block ×3, first 2 shown]
	v_fma_f16 v75, v68, s5, v74
	v_fma_f16 v37, v37, s14, v34
	;; [unrolled: 1-line block ×4, first 2 shown]
	v_add_f16_e32 v24, v23, v24
	v_fma_f16 v63, v68, s11, -v63
	v_fma_f16 v35, v33, s12, -v38
	;; [unrolled: 1-line block ×3, first 2 shown]
	v_mul_f16_e32 v23, 0xbb00, v21
	v_fma_f16 v33, v33, s13, -v34
	v_fma_f16 v34, v62, s10, -v74
	;; [unrolled: 1-line block ×4, first 2 shown]
	v_fma_f16 v75, v65, s4, v75
	v_add_f16_e32 v37, v37, v36
	v_fma_f16 v26, v25, s5, v22
	v_fma_f16 v63, v65, s4, v63
	v_add_f16_e32 v35, v35, v36
	v_fma_f16 v23, v25, s11, -v23
	v_add_f16_e32 v33, v33, v36
	v_fma_f16 v34, v65, s4, v34
	v_fma_f16 v21, v24, s4, v21
	v_add_f16_e32 v1, v1, v40
	v_add_f16_e32 v39, v75, v37
	v_fma_f16 v26, v24, s4, v26
	v_add_f16_e32 v38, v63, v35
	v_fma_f16 v23, v24, s4, v23
	v_sub_f16_e32 v36, v33, v34
	v_add_f16_e32 v22, v21, v1
	v_add_f16_e32 v24, v34, v33
	v_sub_f16_e32 v21, v1, v21
	v_sub_f16_e32 v33, v35, v63
	;; [unrolled: 1-line block ×3, first 2 shown]
	v_mov_b32_e32 v1, 0
	v_mov_b32_e32 v35, s3
	v_add_co_u32_e32 v37, vcc, s2, v2
	v_addc_co_u32_e32 v35, vcc, v35, v3, vcc
	v_lshlrev_b64 v[2:3], 2, v[0:1]
	v_fma_f16 v47, v47, s14, v50
	v_add_f16_e32 v47, v47, v40
	v_add_co_u32_e32 v2, vcc, v37, v2
	v_sub_f16_e32 v54, v47, v26
	v_add_f16_e32 v48, v48, v40
	v_add_f16_e32 v26, v26, v47
	v_addc_co_u32_e32 v3, vcc, v35, v3, vcc
	v_pack_b32_f16 v19, v19, v32
	v_sub_f16_e32 v25, v48, v23
	v_add_f16_e32 v23, v23, v48
	global_store_dword v[2:3], v19, off
	v_pack_b32_f16 v19, v26, v34
	global_store_dword v[2:3], v19, off offset:972
	v_pack_b32_f16 v19, v23, v33
	global_store_dword v[2:3], v19, off offset:1944
	v_pack_b32_f16 v19, v21, v24
	s_movk_i32 s2, 0x1000
	global_store_dword v[2:3], v19, off offset:2916
	v_pack_b32_f16 v19, v22, v36
	v_add_co_u32_e32 v21, vcc, s2, v2
	global_store_dword v[2:3], v19, off offset:3888
	v_pack_b32_f16 v19, v25, v38
	v_addc_co_u32_e32 v22, vcc, 0, v3, vcc
	global_store_dword v[21:22], v19, off offset:764
	v_pack_b32_f16 v19, v54, v39
	global_store_dword v[21:22], v19, off offset:1736
	v_pack_b32_f16 v19, v27, v41
	;; [unrolled: 2-line block ×3, first 2 shown]
	s_mov_b32 s2, 0x86d90545
	global_store_dword v[2:3], v19, off offset:1224
	v_pack_b32_f16 v19, v30, v42
	v_mul_hi_u32 v7, v7, s2
	global_store_dword v[2:3], v19, off offset:2196
	v_pack_b32_f16 v19, v28, v31
	global_store_dword v[2:3], v19, off offset:3168
	v_pack_b32_f16 v19, v29, v44
	;; [unrolled: 2-line block ×4, first 2 shown]
	v_lshrrev_b32_e32 v7, 7, v7
	global_store_dword v[21:22], v19, off offset:1988
	v_mul_u32_u24_e32 v21, 0x5b2, v7
	v_mov_b32_e32 v22, v1
	v_lshlrev_b64 v[21:22], 2, v[21:22]
	v_pack_b32_f16 v7, v43, v55
	v_add_co_u32_e32 v21, vcc, v2, v21
	v_addc_co_u32_e32 v22, vcc, v3, v22, vcc
	s_movk_i32 s2, 0x1f8
	global_store_dword v[21:22], v7, off offset:504
	v_pack_b32_f16 v7, v61, v59
	v_add_co_u32_e32 v23, vcc, s2, v21
	global_store_dword v[21:22], v7, off offset:1476
	v_pack_b32_f16 v7, v52, v56
	v_addc_co_u32_e32 v24, vcc, 0, v22, vcc
	global_store_dword v[21:22], v7, off offset:2448
	v_pack_b32_f16 v7, v60, v57
	global_store_dword v[21:22], v7, off offset:3420
	v_pack_b32_f16 v7, v51, v58
	v_add_co_u32_e32 v21, vcc, 0x1000, v21
	global_store_dword v[23:24], v7, off offset:3888
	v_pack_b32_f16 v7, v70, v80
	v_addc_co_u32_e32 v22, vcc, 0, v22, vcc
	global_store_dword v[21:22], v7, off offset:1268
	v_pack_b32_f16 v7, v79, v78
	global_store_dword v[21:22], v7, off offset:2240
	s_and_b64 exec, exec, s[0:1]
	s_cbranch_execz .LBB0_18
; %bb.17:
	v_subrev_u32_e32 v0, 54, v0
	v_cndmask_b32_e64 v0, v0, v6, s[0:1]
	v_mul_i32_i24_e32 v0, 6, v0
	v_lshlrev_b64 v[0:1], 2, v[0:1]
	v_mov_b32_e32 v6, s9
	v_add_co_u32_e32 v0, vcc, s8, v0
	v_addc_co_u32_e32 v1, vcc, v6, v1, vcc
	global_load_dwordx4 v[21:24], v[0:1], off offset:960
	global_load_dwordx2 v[6:7], v[0:1], off offset:976
	s_waitcnt vmcnt(1)
	v_mul_f16_sdwa v0, v14, v21 dst_sel:DWORD dst_unused:UNUSED_PAD src0_sel:DWORD src1_sel:WORD_1
	v_mul_f16_sdwa v1, v4, v21 dst_sel:DWORD dst_unused:UNUSED_PAD src0_sel:DWORD src1_sel:WORD_1
	;; [unrolled: 1-line block ×4, first 2 shown]
	s_waitcnt vmcnt(0)
	v_mul_f16_sdwa v30, v18, v6 dst_sel:DWORD dst_unused:UNUSED_PAD src0_sel:DWORD src1_sel:WORD_1
	v_mul_f16_sdwa v31, v9, v6 dst_sel:DWORD dst_unused:UNUSED_PAD src0_sel:DWORD src1_sel:WORD_1
	v_mul_f16_sdwa v32, v20, v7 dst_sel:DWORD dst_unused:UNUSED_PAD src0_sel:DWORD src1_sel:WORD_1
	v_mul_f16_sdwa v33, v12, v7 dst_sel:DWORD dst_unused:UNUSED_PAD src0_sel:DWORD src1_sel:WORD_1
	v_mul_f16_sdwa v26, v16, v23 dst_sel:DWORD dst_unused:UNUSED_PAD src0_sel:DWORD src1_sel:WORD_1
	v_mul_f16_sdwa v27, v11, v23 dst_sel:DWORD dst_unused:UNUSED_PAD src0_sel:DWORD src1_sel:WORD_1
	v_mul_f16_sdwa v28, v17, v24 dst_sel:DWORD dst_unused:UNUSED_PAD src0_sel:DWORD src1_sel:WORD_1
	v_mul_f16_sdwa v29, v8, v24 dst_sel:DWORD dst_unused:UNUSED_PAD src0_sel:DWORD src1_sel:WORD_1
	v_fma_f16 v0, v4, v21, v0
	v_fma_f16 v1, v14, v21, -v1
	v_fma_f16 v4, v5, v22, v19
	v_fma_f16 v5, v15, v22, -v25
	;; [unrolled: 2-line block ×6, first 2 shown]
	v_add_f16_e32 v16, v0, v12
	v_add_f16_e32 v17, v1, v7
	v_sub_f16_e32 v0, v0, v12
	v_sub_f16_e32 v1, v1, v7
	v_add_f16_e32 v7, v4, v9
	v_add_f16_e32 v12, v5, v6
	v_sub_f16_e32 v4, v4, v9
	v_sub_f16_e32 v5, v5, v6
	;; [unrolled: 4-line block ×4, first 2 shown]
	v_sub_f16_e32 v16, v16, v6
	v_sub_f16_e32 v17, v17, v9
	;; [unrolled: 1-line block ×4, first 2 shown]
	v_add_f16_e32 v20, v8, v4
	v_add_f16_e32 v21, v11, v5
	v_sub_f16_e32 v22, v8, v4
	v_sub_f16_e32 v23, v11, v5
	;; [unrolled: 1-line block ×3, first 2 shown]
	v_add_f16_e32 v6, v6, v14
	v_add_f16_e32 v9, v9, v15
	v_sub_f16_e32 v8, v0, v8
	v_sub_f16_e32 v11, v1, v11
	;; [unrolled: 1-line block ×3, first 2 shown]
	v_add_f16_e32 v0, v20, v0
	v_add_f16_e32 v1, v21, v1
	v_mul_f16_e32 v14, 0x3a52, v16
	v_mul_f16_e32 v15, 0x3a52, v17
	;; [unrolled: 1-line block ×7, first 2 shown]
	v_add_f16_e32 v10, v10, v6
	v_add_f16_e32 v13, v13, v9
	v_mul_f16_e32 v23, 0xbb00, v5
	v_fma_f16 v7, v7, s7, v14
	v_fma_f16 v12, v12, s7, v15
	v_fma_f16 v16, v18, s13, -v16
	v_fma_f16 v17, v19, s13, -v17
	;; [unrolled: 1-line block ×4, first 2 shown]
	v_fma_f16 v18, v8, s5, v20
	v_fma_f16 v19, v11, s5, v21
	v_fma_f16 v4, v4, s10, -v20
	v_fma_f16 v8, v8, s11, -v22
	v_fma_f16 v6, v6, s6, v10
	v_fma_f16 v9, v9, s6, v13
	v_fma_f16 v5, v5, s10, -v21
	v_fma_f16 v11, v11, s11, -v23
	v_add_f16_e32 v7, v7, v6
	v_add_f16_e32 v12, v12, v9
	;; [unrolled: 1-line block ×6, first 2 shown]
	v_fma_f16 v14, v0, s4, v18
	v_fma_f16 v15, v1, s4, v19
	;; [unrolled: 1-line block ×6, first 2 shown]
	v_add_f16_e32 v8, v15, v7
	v_sub_f16_e32 v11, v12, v14
	v_sub_f16_e32 v19, v9, v0
	v_add_f16_e32 v9, v0, v9
	v_pack_b32_f16 v0, v10, v13
	v_add_f16_e32 v18, v1, v6
	global_store_dword v[2:3], v0, off offset:756
	v_pack_b32_f16 v0, v8, v11
	v_sub_f16_e32 v20, v16, v5
	v_add_f16_e32 v21, v4, v17
	global_store_dword v[2:3], v0, off offset:1728
	v_pack_b32_f16 v0, v18, v19
	global_store_dword v[2:3], v0, off offset:2700
	v_pack_b32_f16 v0, v20, v21
	v_sub_f16_e32 v6, v6, v1
	global_store_dword v[2:3], v0, off offset:3672
	v_add_co_u32_e32 v0, vcc, 0x1000, v2
	v_add_f16_e32 v5, v5, v16
	v_sub_f16_e32 v4, v17, v4
	v_sub_f16_e32 v7, v7, v15
	v_add_f16_e32 v12, v14, v12
	v_addc_co_u32_e32 v1, vcc, 0, v3, vcc
	v_pack_b32_f16 v2, v6, v9
	v_pack_b32_f16 v4, v5, v4
	global_store_dword v[0:1], v2, off offset:1520
	v_pack_b32_f16 v2, v7, v12
	global_store_dword v[0:1], v4, off offset:548
	global_store_dword v[0:1], v2, off offset:2492
.LBB0_18:
	s_endpgm
	.section	.rodata,"a",@progbits
	.p2align	6, 0x0
	.amdhsa_kernel fft_rtc_back_len1701_factors_3_3_3_3_3_7_wgs_63_tpt_63_halfLds_half_ip_CI_unitstride_sbrr_dirReg
		.amdhsa_group_segment_fixed_size 0
		.amdhsa_private_segment_fixed_size 0
		.amdhsa_kernarg_size 88
		.amdhsa_user_sgpr_count 6
		.amdhsa_user_sgpr_private_segment_buffer 1
		.amdhsa_user_sgpr_dispatch_ptr 0
		.amdhsa_user_sgpr_queue_ptr 0
		.amdhsa_user_sgpr_kernarg_segment_ptr 1
		.amdhsa_user_sgpr_dispatch_id 0
		.amdhsa_user_sgpr_flat_scratch_init 0
		.amdhsa_user_sgpr_private_segment_size 0
		.amdhsa_uses_dynamic_stack 0
		.amdhsa_system_sgpr_private_segment_wavefront_offset 0
		.amdhsa_system_sgpr_workgroup_id_x 1
		.amdhsa_system_sgpr_workgroup_id_y 0
		.amdhsa_system_sgpr_workgroup_id_z 0
		.amdhsa_system_sgpr_workgroup_info 0
		.amdhsa_system_vgpr_workitem_id 0
		.amdhsa_next_free_vgpr 105
		.amdhsa_next_free_sgpr 22
		.amdhsa_reserve_vcc 1
		.amdhsa_reserve_flat_scratch 0
		.amdhsa_float_round_mode_32 0
		.amdhsa_float_round_mode_16_64 0
		.amdhsa_float_denorm_mode_32 3
		.amdhsa_float_denorm_mode_16_64 3
		.amdhsa_dx10_clamp 1
		.amdhsa_ieee_mode 1
		.amdhsa_fp16_overflow 0
		.amdhsa_exception_fp_ieee_invalid_op 0
		.amdhsa_exception_fp_denorm_src 0
		.amdhsa_exception_fp_ieee_div_zero 0
		.amdhsa_exception_fp_ieee_overflow 0
		.amdhsa_exception_fp_ieee_underflow 0
		.amdhsa_exception_fp_ieee_inexact 0
		.amdhsa_exception_int_div_zero 0
	.end_amdhsa_kernel
	.text
.Lfunc_end0:
	.size	fft_rtc_back_len1701_factors_3_3_3_3_3_7_wgs_63_tpt_63_halfLds_half_ip_CI_unitstride_sbrr_dirReg, .Lfunc_end0-fft_rtc_back_len1701_factors_3_3_3_3_3_7_wgs_63_tpt_63_halfLds_half_ip_CI_unitstride_sbrr_dirReg
                                        ; -- End function
	.section	.AMDGPU.csdata,"",@progbits
; Kernel info:
; codeLenInByte = 17792
; NumSgprs: 26
; NumVgprs: 105
; ScratchSize: 0
; MemoryBound: 0
; FloatMode: 240
; IeeeMode: 1
; LDSByteSize: 0 bytes/workgroup (compile time only)
; SGPRBlocks: 3
; VGPRBlocks: 26
; NumSGPRsForWavesPerEU: 26
; NumVGPRsForWavesPerEU: 105
; Occupancy: 2
; WaveLimiterHint : 1
; COMPUTE_PGM_RSRC2:SCRATCH_EN: 0
; COMPUTE_PGM_RSRC2:USER_SGPR: 6
; COMPUTE_PGM_RSRC2:TRAP_HANDLER: 0
; COMPUTE_PGM_RSRC2:TGID_X_EN: 1
; COMPUTE_PGM_RSRC2:TGID_Y_EN: 0
; COMPUTE_PGM_RSRC2:TGID_Z_EN: 0
; COMPUTE_PGM_RSRC2:TIDIG_COMP_CNT: 0
	.type	__hip_cuid_c0e16eada79ab564,@object ; @__hip_cuid_c0e16eada79ab564
	.section	.bss,"aw",@nobits
	.globl	__hip_cuid_c0e16eada79ab564
__hip_cuid_c0e16eada79ab564:
	.byte	0                               ; 0x0
	.size	__hip_cuid_c0e16eada79ab564, 1

	.ident	"AMD clang version 19.0.0git (https://github.com/RadeonOpenCompute/llvm-project roc-6.4.0 25133 c7fe45cf4b819c5991fe208aaa96edf142730f1d)"
	.section	".note.GNU-stack","",@progbits
	.addrsig
	.addrsig_sym __hip_cuid_c0e16eada79ab564
	.amdgpu_metadata
---
amdhsa.kernels:
  - .args:
      - .actual_access:  read_only
        .address_space:  global
        .offset:         0
        .size:           8
        .value_kind:     global_buffer
      - .offset:         8
        .size:           8
        .value_kind:     by_value
      - .actual_access:  read_only
        .address_space:  global
        .offset:         16
        .size:           8
        .value_kind:     global_buffer
      - .actual_access:  read_only
        .address_space:  global
        .offset:         24
        .size:           8
        .value_kind:     global_buffer
      - .offset:         32
        .size:           8
        .value_kind:     by_value
      - .actual_access:  read_only
        .address_space:  global
        .offset:         40
        .size:           8
        .value_kind:     global_buffer
      - .actual_access:  read_only
        .address_space:  global
        .offset:         48
        .size:           8
        .value_kind:     global_buffer
      - .offset:         56
        .size:           4
        .value_kind:     by_value
      - .actual_access:  read_only
        .address_space:  global
        .offset:         64
        .size:           8
        .value_kind:     global_buffer
      - .actual_access:  read_only
        .address_space:  global
        .offset:         72
        .size:           8
        .value_kind:     global_buffer
      - .address_space:  global
        .offset:         80
        .size:           8
        .value_kind:     global_buffer
    .group_segment_fixed_size: 0
    .kernarg_segment_align: 8
    .kernarg_segment_size: 88
    .language:       OpenCL C
    .language_version:
      - 2
      - 0
    .max_flat_workgroup_size: 63
    .name:           fft_rtc_back_len1701_factors_3_3_3_3_3_7_wgs_63_tpt_63_halfLds_half_ip_CI_unitstride_sbrr_dirReg
    .private_segment_fixed_size: 0
    .sgpr_count:     26
    .sgpr_spill_count: 0
    .symbol:         fft_rtc_back_len1701_factors_3_3_3_3_3_7_wgs_63_tpt_63_halfLds_half_ip_CI_unitstride_sbrr_dirReg.kd
    .uniform_work_group_size: 1
    .uses_dynamic_stack: false
    .vgpr_count:     105
    .vgpr_spill_count: 0
    .wavefront_size: 64
amdhsa.target:   amdgcn-amd-amdhsa--gfx906
amdhsa.version:
  - 1
  - 2
...

	.end_amdgpu_metadata
